;; amdgpu-corpus repo=pytorch/pytorch kind=compiled arch=gfx1250 opt=O3
	.amdgcn_target "amdgcn-amd-amdhsa--gfx1250"
	.amdhsa_code_object_version 6
	.section	.text._ZN2at6native12_GLOBAL__N_128upsample_nearest3d_out_frameIdXadL_ZNS0_37nearest_neighbor_compute_source_indexEfiiEEEEvPKT_mmmmmmmmPS3_fff,"axG",@progbits,_ZN2at6native12_GLOBAL__N_128upsample_nearest3d_out_frameIdXadL_ZNS0_37nearest_neighbor_compute_source_indexEfiiEEEEvPKT_mmmmmmmmPS3_fff,comdat
	.globl	_ZN2at6native12_GLOBAL__N_128upsample_nearest3d_out_frameIdXadL_ZNS0_37nearest_neighbor_compute_source_indexEfiiEEEEvPKT_mmmmmmmmPS3_fff ; -- Begin function _ZN2at6native12_GLOBAL__N_128upsample_nearest3d_out_frameIdXadL_ZNS0_37nearest_neighbor_compute_source_indexEfiiEEEEvPKT_mmmmmmmmPS3_fff
	.p2align	8
	.type	_ZN2at6native12_GLOBAL__N_128upsample_nearest3d_out_frameIdXadL_ZNS0_37nearest_neighbor_compute_source_indexEfiiEEEEvPKT_mmmmmmmmPS3_fff,@function
_ZN2at6native12_GLOBAL__N_128upsample_nearest3d_out_frameIdXadL_ZNS0_37nearest_neighbor_compute_source_indexEfiiEEEEvPKT_mmmmmmmmPS3_fff: ; @_ZN2at6native12_GLOBAL__N_128upsample_nearest3d_out_frameIdXadL_ZNS0_37nearest_neighbor_compute_source_indexEfiiEEEEvPKT_mmmmmmmmPS3_fff
; %bb.0:
	s_clause 0x2
	s_load_b32 s2, s[0:1], 0x6c
	s_load_b512 s[4:19], s[0:1], 0x0
	s_load_b128 s[20:23], s[0:1], 0x40
	s_bfe_u32 s3, ttmp6, 0x4000c
	v_mov_b32_e32 v2, 0
	s_add_co_i32 s3, s3, 1
	s_and_b32 s24, ttmp6, 15
	s_mul_i32 s3, ttmp9, s3
	s_getreg_b32 s25, hwreg(HW_REG_IB_STS2, 6, 4)
	v_mov_b32_e32 v1, v2
	s_add_co_i32 s24, s24, s3
	s_wait_kmcnt 0x0
	s_and_b32 s2, s2, 0xffff
	s_cmp_eq_u32 s25, 0
	s_cselect_b32 s3, ttmp9, s24
	s_cmp_lg_u64 s[6:7], 0
	v_mad_nc_u64_u32 v[0:1], s2, s3, v[0:1]
	s_mul_u64 s[2:3], s[18:19], s[16:17]
	s_delay_alu instid0(SALU_CYCLE_1) | instskip(NEXT) | instid1(SALU_CYCLE_1)
	s_mul_u64 s[24:25], s[2:3], s[8:9]
	s_mul_u64 s[24:25], s[24:25], s[20:21]
	s_delay_alu instid0(VALU_DEP_1) | instid1(SALU_CYCLE_1)
	v_cmp_gt_u64_e32 vcc_lo, s[24:25], v[0:1]
	s_cselect_b32 s24, -1, 0
	s_delay_alu instid0(SALU_CYCLE_1) | instskip(NEXT) | instid1(SALU_CYCLE_1)
	s_and_b32 s24, vcc_lo, s24
	s_and_saveexec_b32 s25, s24
	s_cbranch_execz .LBB0_31
; %bb.1:
	s_mul_u64 s[24:25], s[2:3], s[20:21]
                                        ; implicit-def: $vgpr4_vgpr5
	s_mov_b32 s2, exec_lo
	v_or_b32_e32 v3, s25, v1
	s_delay_alu instid0(VALU_DEP_1)
	v_cmpx_ne_u64_e32 0, v[2:3]
	s_xor_b32 s3, exec_lo, s2
	s_cbranch_execz .LBB0_3
; %bb.2:
	s_ashr_i32 s26, s25, 31
	s_mov_b32 s39, 0
	s_mov_b32 s27, s26
	v_dual_mov_b32 v7, 0 :: v_dual_ashrrev_i32 v2, 31, v1
	s_add_nc_u64 s[28:29], s[24:25], s[26:27]
	s_delay_alu instid0(SALU_CYCLE_1) | instskip(NEXT) | instid1(VALU_DEP_1)
	s_xor_b64 s[28:29], s[28:29], s[26:27]
	v_mov_b32_e32 v3, v2
	s_cvt_f32_u32 s2, s28
	s_cvt_f32_u32 s25, s29
	s_sub_nc_u64 s[34:35], 0, s[28:29]
	s_delay_alu instid0(VALU_DEP_1) | instskip(NEXT) | instid1(SALU_CYCLE_1)
	v_add_nc_u64_e32 v[4:5], v[0:1], v[2:3]
	s_fmamk_f32 s2, s25, 0x4f800000, s2
	v_mov_b32_e32 v9, v7
	s_delay_alu instid0(SALU_CYCLE_2) | instskip(NEXT) | instid1(VALU_DEP_2)
	v_s_rcp_f32 s2, s2
	v_xor_b32_e32 v6, v4, v2
	s_delay_alu instid0(VALU_DEP_3) | instskip(SKIP_1) | instid1(TRANS32_DEP_1)
	v_dual_mov_b32 v15, v7 :: v_dual_bitop2_b32 v8, v5, v2 bitop3:0x14
	v_xor_b32_e32 v2, s26, v2
	s_mul_f32 s2, s2, 0x5f7ffffc
	s_delay_alu instid0(SALU_CYCLE_3) | instskip(NEXT) | instid1(SALU_CYCLE_3)
	s_mul_f32 s25, s2, 0x2f800000
	s_trunc_f32 s25, s25
	s_delay_alu instid0(SALU_CYCLE_3) | instskip(SKIP_1) | instid1(SALU_CYCLE_2)
	s_fmamk_f32 s2, s25, 0xcf800000, s2
	s_cvt_u32_f32 s31, s25
	s_cvt_u32_f32 s30, s2
	s_delay_alu instid0(SALU_CYCLE_3) | instskip(NEXT) | instid1(SALU_CYCLE_1)
	s_mul_u64 s[36:37], s[34:35], s[30:31]
	s_mul_hi_u32 s41, s30, s37
	s_mul_i32 s40, s30, s37
	s_mul_hi_u32 s38, s30, s36
	s_mul_i32 s25, s31, s36
	s_add_nc_u64 s[40:41], s[38:39], s[40:41]
	s_mul_hi_u32 s2, s31, s36
	s_mul_hi_u32 s27, s31, s37
	s_add_co_u32 s25, s40, s25
	s_add_co_ci_u32 s38, s41, s2
	s_mul_i32 s36, s31, s37
	s_add_co_ci_u32 s37, s27, 0
	s_delay_alu instid0(SALU_CYCLE_1) | instskip(NEXT) | instid1(SALU_CYCLE_1)
	s_add_nc_u64 s[36:37], s[38:39], s[36:37]
	s_add_co_u32 s30, s30, s36
	s_cselect_b32 s2, -1, 0
	s_delay_alu instid0(SALU_CYCLE_1) | instskip(SKIP_1) | instid1(SALU_CYCLE_1)
	s_cmp_lg_u32 s2, 0
	s_add_co_ci_u32 s31, s31, s37
	s_mul_u64 s[34:35], s[34:35], s[30:31]
	s_delay_alu instid0(SALU_CYCLE_1)
	s_mul_hi_u32 s37, s30, s35
	s_mul_i32 s36, s30, s35
	s_mul_hi_u32 s38, s30, s34
	s_mul_i32 s25, s31, s34
	s_add_nc_u64 s[36:37], s[38:39], s[36:37]
	s_mul_hi_u32 s2, s31, s34
	s_mul_hi_u32 s27, s31, s35
	s_add_co_u32 s25, s36, s25
	s_add_co_ci_u32 s38, s37, s2
	s_mul_i32 s34, s31, s35
	s_add_co_ci_u32 s35, s27, 0
	s_delay_alu instid0(SALU_CYCLE_1) | instskip(NEXT) | instid1(SALU_CYCLE_1)
	s_add_nc_u64 s[34:35], s[38:39], s[34:35]
	s_add_co_u32 s2, s30, s34
	s_cselect_b32 s25, -1, 0
	v_mul_hi_u32 v14, v6, s2
	s_cmp_lg_u32 s25, 0
	s_add_co_ci_u32 s38, s31, s35
	s_mov_b64 s[30:31], 0xffffffff
	v_mul_u64_e32 v[10:11], s[38:39], v[6:7]
	s_and_b64 s[30:31], s[2:3], s[30:31]
	v_mul_u64_e32 v[12:13], s[38:39], v[8:9]
	v_mul_u64_e32 v[4:5], s[30:31], v[8:9]
	s_delay_alu instid0(VALU_DEP_3) | instskip(NEXT) | instid1(VALU_DEP_1)
	v_add_nc_u64_e32 v[10:11], v[14:15], v[10:11]
	v_add_co_u32 v3, vcc_lo, v10, v4
	s_delay_alu instid0(VALU_DEP_2) | instskip(SKIP_1) | instid1(VALU_DEP_1)
	v_add_co_ci_u32_e32 v14, vcc_lo, v11, v5, vcc_lo
	v_add_co_ci_u32_e32 v13, vcc_lo, 0, v13, vcc_lo
	v_add_nc_u64_e32 v[4:5], v[14:15], v[12:13]
	s_delay_alu instid0(VALU_DEP_1) | instskip(NEXT) | instid1(VALU_DEP_1)
	v_mul_u64_e32 v[10:11], s[28:29], v[4:5]
	v_sub_nc_u32_e32 v3, v8, v11
	s_delay_alu instid0(VALU_DEP_2) | instskip(NEXT) | instid1(VALU_DEP_1)
	v_sub_co_u32 v6, vcc_lo, v6, v10
	v_sub_co_ci_u32_e64 v10, null, v8, v11, vcc_lo
	s_delay_alu instid0(VALU_DEP_3) | instskip(NEXT) | instid1(VALU_DEP_3)
	v_subrev_co_ci_u32_e64 v3, null, s29, v3, vcc_lo
	v_sub_co_u32 v7, s2, v6, s28
	s_delay_alu instid0(VALU_DEP_1) | instskip(NEXT) | instid1(VALU_DEP_2)
	v_subrev_co_ci_u32_e64 v3, null, 0, v3, s2
	v_cmp_le_u32_e32 vcc_lo, s28, v7
	v_cndmask_b32_e64 v7, 0, -1, vcc_lo
	s_delay_alu instid0(VALU_DEP_3)
	v_cmp_le_u32_e32 vcc_lo, s29, v3
	v_cndmask_b32_e64 v8, 0, -1, vcc_lo
	v_cmp_le_u32_e32 vcc_lo, s28, v6
	v_cndmask_b32_e64 v11, 0, -1, vcc_lo
	v_cmp_le_u32_e32 vcc_lo, s29, v10
	v_cndmask_b32_e64 v12, 0, -1, vcc_lo
	v_cmp_eq_u32_e32 vcc_lo, s29, v3
	v_cndmask_b32_e32 v3, v8, v7, vcc_lo
	v_cmp_eq_u32_e32 vcc_lo, s29, v10
	v_add_nc_u64_e32 v[6:7], 2, v[4:5]
	v_add_nc_u64_e32 v[8:9], 1, v[4:5]
	v_cndmask_b32_e32 v10, v12, v11, vcc_lo
	v_cmp_ne_u32_e32 vcc_lo, 0, v3
	s_delay_alu instid0(VALU_DEP_2) | instskip(NEXT) | instid1(VALU_DEP_4)
	v_cmp_ne_u32_e64 s2, 0, v10
	v_dual_cndmask_b32 v6, v8, v6 :: v_dual_cndmask_b32 v3, v9, v7
	s_delay_alu instid0(VALU_DEP_1) | instskip(NEXT) | instid1(VALU_DEP_1)
	v_dual_cndmask_b32 v4, v4, v6, s2 :: v_dual_cndmask_b32 v5, v5, v3, s2
	v_dual_mov_b32 v3, v2 :: v_dual_bitop2_b32 v4, v4, v2 bitop3:0x14
	s_delay_alu instid0(VALU_DEP_2) | instskip(NEXT) | instid1(VALU_DEP_1)
	v_xor_b32_e32 v5, v5, v2
	v_sub_nc_u64_e32 v[4:5], v[4:5], v[2:3]
.LBB0_3:
	s_and_not1_saveexec_b32 s2, s3
	s_cbranch_execz .LBB0_5
; %bb.4:
	v_cvt_f32_u32_e32 v2, s24
	s_sub_co_i32 s3, 0, s24
	s_delay_alu instid0(VALU_DEP_1) | instskip(SKIP_1) | instid1(TRANS32_DEP_1)
	v_rcp_iflag_f32_e32 v2, v2
	v_nop
	v_mul_f32_e32 v2, 0x4f7ffffe, v2
	s_delay_alu instid0(VALU_DEP_1) | instskip(NEXT) | instid1(VALU_DEP_1)
	v_cvt_u32_f32_e32 v2, v2
	v_mul_lo_u32 v3, s3, v2
	s_delay_alu instid0(VALU_DEP_1) | instskip(NEXT) | instid1(VALU_DEP_1)
	v_mul_hi_u32 v3, v2, v3
	v_add_nc_u32_e32 v2, v2, v3
	s_delay_alu instid0(VALU_DEP_1) | instskip(NEXT) | instid1(VALU_DEP_1)
	v_mul_hi_u32 v2, v0, v2
	v_mul_lo_u32 v3, v2, s24
	s_delay_alu instid0(VALU_DEP_1) | instskip(NEXT) | instid1(VALU_DEP_1)
	v_dual_add_nc_u32 v4, 1, v2 :: v_dual_sub_nc_u32 v3, v0, v3
	v_subrev_nc_u32_e32 v5, s24, v3
	v_cmp_le_u32_e32 vcc_lo, s24, v3
	s_delay_alu instid0(VALU_DEP_2) | instskip(NEXT) | instid1(VALU_DEP_4)
	v_dual_cndmask_b32 v3, v3, v5, vcc_lo :: v_dual_mov_b32 v5, 0
	v_cndmask_b32_e32 v2, v2, v4, vcc_lo
	s_delay_alu instid0(VALU_DEP_2) | instskip(NEXT) | instid1(VALU_DEP_2)
	v_cmp_le_u32_e32 vcc_lo, s24, v3
	v_add_nc_u32_e32 v4, 1, v2
	s_delay_alu instid0(VALU_DEP_1)
	v_cndmask_b32_e32 v4, v2, v4, vcc_lo
.LBB0_5:
	s_or_b32 exec_lo, exec_lo, s2
	s_delay_alu instid0(VALU_DEP_1) | instskip(SKIP_1) | instid1(VALU_DEP_1)
	v_dual_mov_b32 v6, 0 :: v_dual_bitop2_b32 v7, s9, v5 bitop3:0x54
                                        ; implicit-def: $vgpr2_vgpr3
	s_mov_b32 s2, exec_lo
	v_cmpx_ne_u64_e32 0, v[6:7]
	s_xor_b32 s3, exec_lo, s2
	s_cbranch_execz .LBB0_7
; %bb.6:
	s_cvt_f32_u32 s2, s8
	s_cvt_f32_u32 s24, s9
	s_sub_nc_u64 s[26:27], 0, s[8:9]
	s_mov_b32 s31, 0
	v_dual_mov_b32 v2, v4 :: v_dual_mov_b32 v3, v6
	s_fmamk_f32 s2, s24, 0x4f800000, s2
	v_dual_mov_b32 v8, v5 :: v_dual_mov_b32 v9, v6
	v_dual_mov_b32 v13, v6 :: v_dual_mov_b32 v7, v6
	s_delay_alu instid0(SALU_CYCLE_1) | instskip(NEXT) | instid1(TRANS32_DEP_1)
	v_s_rcp_f32 s2, s2
	s_mul_f32 s2, s2, 0x5f7ffffc
	s_delay_alu instid0(SALU_CYCLE_3) | instskip(NEXT) | instid1(SALU_CYCLE_3)
	s_mul_f32 s24, s2, 0x2f800000
	s_trunc_f32 s24, s24
	s_delay_alu instid0(SALU_CYCLE_3) | instskip(SKIP_1) | instid1(SALU_CYCLE_2)
	s_fmamk_f32 s2, s24, 0xcf800000, s2
	s_cvt_u32_f32 s25, s24
	s_cvt_u32_f32 s24, s2
	s_delay_alu instid0(SALU_CYCLE_3) | instskip(NEXT) | instid1(SALU_CYCLE_1)
	s_mul_u64 s[28:29], s[26:27], s[24:25]
	s_mul_hi_u32 s35, s24, s29
	s_mul_i32 s34, s24, s29
	s_mul_hi_u32 s30, s24, s28
	s_mul_i32 s33, s25, s28
	s_add_nc_u64 s[34:35], s[30:31], s[34:35]
	s_mul_hi_u32 s2, s25, s28
	s_mul_hi_u32 s36, s25, s29
	s_mul_i32 s28, s25, s29
	s_add_co_u32 s29, s34, s33
	s_add_co_ci_u32 s30, s35, s2
	s_add_co_ci_u32 s29, s36, 0
	s_delay_alu instid0(SALU_CYCLE_1) | instskip(NEXT) | instid1(SALU_CYCLE_1)
	s_add_nc_u64 s[28:29], s[30:31], s[28:29]
	s_add_co_u32 s24, s24, s28
	s_cselect_b32 s2, -1, 0
	s_delay_alu instid0(SALU_CYCLE_1) | instskip(SKIP_1) | instid1(SALU_CYCLE_1)
	s_cmp_lg_u32 s2, 0
	s_add_co_ci_u32 s25, s25, s29
	s_mul_u64 s[26:27], s[26:27], s[24:25]
	s_delay_alu instid0(SALU_CYCLE_1)
	s_mul_hi_u32 s29, s24, s27
	s_mul_i32 s28, s24, s27
	s_mul_hi_u32 s30, s24, s26
	s_mul_i32 s33, s25, s26
	s_add_nc_u64 s[28:29], s[30:31], s[28:29]
	s_mul_hi_u32 s2, s25, s26
	s_mul_hi_u32 s34, s25, s27
	s_mul_i32 s26, s25, s27
	s_add_co_u32 s27, s28, s33
	s_add_co_ci_u32 s30, s29, s2
	s_add_co_ci_u32 s27, s34, 0
	s_delay_alu instid0(SALU_CYCLE_1) | instskip(NEXT) | instid1(SALU_CYCLE_1)
	s_add_nc_u64 s[26:27], s[30:31], s[26:27]
	s_add_co_u32 s2, s24, s26
	s_cselect_b32 s24, -1, 0
	v_nop
	v_mul_hi_u32 v12, v4, s2
	s_cmp_lg_u32 s24, 0
	s_add_co_ci_u32 s30, s25, s27
	s_mov_b64 s[24:25], 0xffffffff
	v_mul_u64_e32 v[2:3], s[30:31], v[2:3]
	s_and_b64 s[24:25], s[2:3], s[24:25]
	s_delay_alu instid0(SALU_CYCLE_1) | instskip(SKIP_1) | instid1(VALU_DEP_3)
	v_mul_u64_e32 v[10:11], s[24:25], v[8:9]
	v_mul_u64_e32 v[8:9], s[30:31], v[8:9]
	v_add_nc_u64_e32 v[2:3], v[12:13], v[2:3]
	s_delay_alu instid0(VALU_DEP_1) | instskip(NEXT) | instid1(VALU_DEP_2)
	v_add_co_u32 v2, vcc_lo, v2, v10
	v_add_co_ci_u32_e32 v6, vcc_lo, v3, v11, vcc_lo
	s_delay_alu instid0(VALU_DEP_4) | instskip(NEXT) | instid1(VALU_DEP_1)
	v_add_co_ci_u32_e32 v9, vcc_lo, 0, v9, vcc_lo
	v_add_nc_u64_e32 v[2:3], v[6:7], v[8:9]
	s_delay_alu instid0(VALU_DEP_1) | instskip(NEXT) | instid1(VALU_DEP_1)
	v_mul_u64_e32 v[2:3], s[8:9], v[2:3]
	v_sub_nc_u32_e32 v6, v5, v3
	s_delay_alu instid0(VALU_DEP_2) | instskip(NEXT) | instid1(VALU_DEP_1)
	v_sub_co_u32 v2, vcc_lo, v4, v2
	v_sub_co_ci_u32_e64 v3, null, v5, v3, vcc_lo
	s_delay_alu instid0(VALU_DEP_3) | instskip(NEXT) | instid1(VALU_DEP_3)
	v_subrev_co_ci_u32_e64 v4, null, s9, v6, vcc_lo
	v_sub_co_u32 v5, vcc_lo, v2, s8
	v_cmp_le_u32_e64 s2, s8, v2
	s_delay_alu instid0(VALU_DEP_3) | instskip(SKIP_1) | instid1(VALU_DEP_3)
	v_subrev_co_ci_u32_e64 v6, null, 0, v4, vcc_lo
	v_subrev_co_ci_u32_e64 v4, null, s9, v4, vcc_lo
	v_cndmask_b32_e64 v7, 0, -1, s2
	v_cmp_le_u32_e64 s2, s8, v5
	v_cmp_le_u32_e32 vcc_lo, s9, v3
	s_delay_alu instid0(VALU_DEP_2) | instskip(SKIP_3) | instid1(VALU_DEP_3)
	v_cndmask_b32_e64 v8, 0, -1, s2
	v_cmp_le_u32_e64 s2, s9, v6
	v_cndmask_b32_e64 v10, 0, -1, vcc_lo
	v_cmp_eq_u32_e32 vcc_lo, s9, v6
	v_cndmask_b32_e64 v9, 0, -1, s2
	s_delay_alu instid0(VALU_DEP_1) | instskip(SKIP_1) | instid1(VALU_DEP_1)
	v_cndmask_b32_e32 v6, v9, v8, vcc_lo
	v_sub_co_u32 v8, vcc_lo, v5, s8
	v_subrev_co_ci_u32_e64 v4, null, 0, v4, vcc_lo
	v_cmp_eq_u32_e32 vcc_lo, s9, v3
	v_cndmask_b32_e32 v3, v10, v7, vcc_lo
	v_cmp_ne_u32_e32 vcc_lo, 0, v6
	v_cndmask_b32_e32 v4, v5, v8, vcc_lo
	s_delay_alu instid0(VALU_DEP_3) | instskip(NEXT) | instid1(VALU_DEP_2)
	v_cmp_ne_u32_e32 vcc_lo, 0, v3
	v_cndmask_b32_e32 v2, v2, v4, vcc_lo
                                        ; implicit-def: $vgpr4_vgpr5
.LBB0_7:
	s_and_not1_saveexec_b32 s2, s3
	s_cbranch_execz .LBB0_9
; %bb.8:
	v_cvt_f32_u32_e32 v2, s8
	s_sub_co_i32 s3, 0, s8
	s_delay_alu instid0(VALU_DEP_1) | instskip(SKIP_1) | instid1(TRANS32_DEP_1)
	v_rcp_iflag_f32_e32 v2, v2
	v_nop
	v_mul_f32_e32 v2, 0x4f7ffffe, v2
	s_delay_alu instid0(VALU_DEP_1) | instskip(NEXT) | instid1(VALU_DEP_1)
	v_cvt_u32_f32_e32 v2, v2
	v_mul_lo_u32 v3, s3, v2
	s_delay_alu instid0(VALU_DEP_1) | instskip(NEXT) | instid1(VALU_DEP_1)
	v_mul_hi_u32 v3, v2, v3
	v_add_nc_u32_e32 v2, v2, v3
	s_delay_alu instid0(VALU_DEP_1) | instskip(NEXT) | instid1(VALU_DEP_1)
	v_mul_hi_u32 v2, v4, v2
	v_mul_lo_u32 v2, v2, s8
	s_delay_alu instid0(VALU_DEP_1) | instskip(NEXT) | instid1(VALU_DEP_1)
	v_sub_nc_u32_e32 v2, v4, v2
	v_subrev_nc_u32_e32 v3, s8, v2
	v_cmp_le_u32_e32 vcc_lo, s8, v2
	s_delay_alu instid0(VALU_DEP_2) | instskip(NEXT) | instid1(VALU_DEP_1)
	v_cndmask_b32_e32 v2, v2, v3, vcc_lo
	v_subrev_nc_u32_e32 v3, s8, v2
	v_cmp_le_u32_e32 vcc_lo, s8, v2
	s_delay_alu instid0(VALU_DEP_2)
	v_cndmask_b32_e32 v2, v2, v3, vcc_lo
.LBB0_9:
	s_or_b32 exec_lo, exec_lo, s2
	v_dual_mov_b32 v6, 0 :: v_dual_bitop2_b32 v7, s21, v1 bitop3:0x54
	s_cvt_f32_u32 s29, s20
	s_cvt_f32_u32 s30, s21
	s_sub_nc_u64 s[26:27], 0, s[20:21]
                                        ; implicit-def: $vgpr4_vgpr5
	s_mov_b32 s2, exec_lo
	v_cmpx_ne_u64_e32 0, v[6:7]
	s_xor_b32 s3, exec_lo, s2
	s_cbranch_execz .LBB0_11
; %bb.10:
	s_fmamk_f32 s2, s30, 0x4f800000, s29
	s_mov_b32 s37, 0
	v_dual_mov_b32 v4, v0 :: v_dual_mov_b32 v5, v6
	s_delay_alu instid0(SALU_CYCLE_1) | instskip(SKIP_2) | instid1(TRANS32_DEP_1)
	v_s_rcp_f32 s2, s2
	v_dual_mov_b32 v8, v1 :: v_dual_mov_b32 v9, v6
	v_dual_mov_b32 v13, v6 :: v_dual_mov_b32 v7, v6
	s_mul_f32 s2, s2, 0x5f7ffffc
	s_delay_alu instid0(SALU_CYCLE_3) | instskip(NEXT) | instid1(SALU_CYCLE_3)
	s_mul_f32 s24, s2, 0x2f800000
	s_trunc_f32 s24, s24
	s_delay_alu instid0(SALU_CYCLE_3) | instskip(SKIP_1) | instid1(SALU_CYCLE_2)
	s_fmamk_f32 s2, s24, 0xcf800000, s2
	s_cvt_u32_f32 s25, s24
	s_cvt_u32_f32 s24, s2
	s_delay_alu instid0(SALU_CYCLE_3) | instskip(NEXT) | instid1(SALU_CYCLE_1)
	s_mul_u64 s[34:35], s[26:27], s[24:25]
	s_mul_hi_u32 s39, s24, s35
	s_mul_i32 s38, s24, s35
	s_mul_hi_u32 s36, s24, s34
	s_mul_i32 s28, s25, s34
	s_add_nc_u64 s[38:39], s[36:37], s[38:39]
	s_mul_hi_u32 s2, s25, s34
	s_mul_hi_u32 s31, s25, s35
	s_add_co_u32 s28, s38, s28
	s_add_co_ci_u32 s36, s39, s2
	s_mul_i32 s34, s25, s35
	s_add_co_ci_u32 s35, s31, 0
	s_delay_alu instid0(SALU_CYCLE_1) | instskip(NEXT) | instid1(SALU_CYCLE_1)
	s_add_nc_u64 s[34:35], s[36:37], s[34:35]
	s_add_co_u32 s24, s24, s34
	s_cselect_b32 s2, -1, 0
	s_delay_alu instid0(SALU_CYCLE_1) | instskip(SKIP_1) | instid1(SALU_CYCLE_1)
	s_cmp_lg_u32 s2, 0
	s_add_co_ci_u32 s25, s25, s35
	s_mul_u64 s[34:35], s[26:27], s[24:25]
	s_delay_alu instid0(SALU_CYCLE_1)
	s_mul_hi_u32 s39, s24, s35
	s_mul_i32 s38, s24, s35
	s_mul_hi_u32 s36, s24, s34
	s_mul_i32 s28, s25, s34
	s_add_nc_u64 s[38:39], s[36:37], s[38:39]
	s_mul_hi_u32 s2, s25, s34
	s_mul_hi_u32 s31, s25, s35
	s_add_co_u32 s28, s38, s28
	s_add_co_ci_u32 s36, s39, s2
	s_mul_i32 s34, s25, s35
	s_add_co_ci_u32 s35, s31, 0
	s_delay_alu instid0(SALU_CYCLE_1) | instskip(NEXT) | instid1(SALU_CYCLE_1)
	s_add_nc_u64 s[34:35], s[36:37], s[34:35]
	s_add_co_u32 s2, s24, s34
	s_cselect_b32 s24, -1, 0
	v_mul_hi_u32 v12, v0, s2
	s_cmp_lg_u32 s24, 0
	s_add_co_ci_u32 s36, s25, s35
	s_mov_b64 s[24:25], 0xffffffff
	v_mul_u64_e32 v[4:5], s[36:37], v[4:5]
	s_and_b64 s[24:25], s[2:3], s[24:25]
	s_delay_alu instid0(SALU_CYCLE_1) | instskip(SKIP_1) | instid1(VALU_DEP_3)
	v_mul_u64_e32 v[10:11], s[24:25], v[8:9]
	v_mul_u64_e32 v[8:9], s[36:37], v[8:9]
	v_add_nc_u64_e32 v[4:5], v[12:13], v[4:5]
	s_delay_alu instid0(VALU_DEP_1) | instskip(NEXT) | instid1(VALU_DEP_2)
	v_add_co_u32 v3, vcc_lo, v4, v10
	v_add_co_ci_u32_e32 v6, vcc_lo, v5, v11, vcc_lo
	s_delay_alu instid0(VALU_DEP_4) | instskip(NEXT) | instid1(VALU_DEP_1)
	v_add_co_ci_u32_e32 v9, vcc_lo, 0, v9, vcc_lo
	v_add_nc_u64_e32 v[4:5], v[6:7], v[8:9]
	s_delay_alu instid0(VALU_DEP_1) | instskip(SKIP_1) | instid1(VALU_DEP_2)
	v_mul_u64_e32 v[6:7], s[20:21], v[4:5]
	v_add_nc_u64_e32 v[8:9], 2, v[4:5]
	v_sub_nc_u32_e32 v3, v1, v7
	s_delay_alu instid0(VALU_DEP_3) | instskip(NEXT) | instid1(VALU_DEP_1)
	v_sub_co_u32 v6, vcc_lo, v0, v6
	v_sub_co_ci_u32_e64 v12, null, v1, v7, vcc_lo
	s_delay_alu instid0(VALU_DEP_3) | instskip(NEXT) | instid1(VALU_DEP_3)
	v_subrev_co_ci_u32_e64 v3, null, s21, v3, vcc_lo
	v_sub_co_u32 v10, s2, v6, s20
	v_cmp_le_u32_e32 vcc_lo, s20, v6
	s_delay_alu instid0(VALU_DEP_3) | instskip(NEXT) | instid1(VALU_DEP_3)
	v_subrev_co_ci_u32_e64 v3, null, 0, v3, s2
	v_cmp_le_u32_e64 s2, s20, v10
	v_add_nc_u64_e32 v[6:7], 1, v[4:5]
	v_cndmask_b32_e64 v13, 0, -1, vcc_lo
	s_delay_alu instid0(VALU_DEP_4) | instskip(NEXT) | instid1(VALU_DEP_4)
	v_cmp_eq_u32_e32 vcc_lo, s21, v3
	v_cndmask_b32_e64 v10, 0, -1, s2
	v_cmp_le_u32_e64 s2, s21, v3
	s_delay_alu instid0(VALU_DEP_1) | instskip(SKIP_1) | instid1(VALU_DEP_2)
	v_cndmask_b32_e64 v11, 0, -1, s2
	v_cmp_eq_u32_e64 s2, s21, v12
	v_cndmask_b32_e32 v3, v11, v10, vcc_lo
	v_cmp_le_u32_e32 vcc_lo, s21, v12
	v_cndmask_b32_e64 v10, 0, -1, vcc_lo
	s_delay_alu instid0(VALU_DEP_3) | instskip(SKIP_1) | instid1(VALU_DEP_3)
	v_cmp_ne_u32_e32 vcc_lo, 0, v3
	v_cndmask_b32_e32 v7, v7, v9, vcc_lo
	v_cndmask_b32_e64 v3, v10, v13, s2
	v_cndmask_b32_e32 v6, v6, v8, vcc_lo
	s_delay_alu instid0(VALU_DEP_2) | instskip(NEXT) | instid1(VALU_DEP_2)
	v_cmp_ne_u32_e32 vcc_lo, 0, v3
	v_dual_cndmask_b32 v5, v5, v7 :: v_dual_cndmask_b32 v4, v4, v6
.LBB0_11:
	s_or_saveexec_b32 s2, s3
	v_cvt_f32_u32_e32 v12, s20
	s_xor_b32 exec_lo, exec_lo, s2
	s_cbranch_execz .LBB0_13
; %bb.12:
	s_delay_alu instid0(VALU_DEP_1) | instskip(SKIP_2) | instid1(TRANS32_DEP_1)
	v_rcp_iflag_f32_e32 v3, v12
	s_sub_co_i32 s3, 0, s20
	v_nop
	v_mul_f32_e32 v3, 0x4f7ffffe, v3
	s_delay_alu instid0(VALU_DEP_1) | instskip(NEXT) | instid1(VALU_DEP_1)
	v_cvt_u32_f32_e32 v3, v3
	v_mul_lo_u32 v4, s3, v3
	s_delay_alu instid0(VALU_DEP_1) | instskip(NEXT) | instid1(VALU_DEP_1)
	v_mul_hi_u32 v4, v3, v4
	v_add_nc_u32_e32 v3, v3, v4
	s_delay_alu instid0(VALU_DEP_1) | instskip(NEXT) | instid1(VALU_DEP_1)
	v_mul_hi_u32 v3, v0, v3
	v_mul_lo_u32 v4, v3, s20
	s_delay_alu instid0(VALU_DEP_1) | instskip(NEXT) | instid1(VALU_DEP_1)
	v_dual_add_nc_u32 v5, 1, v3 :: v_dual_sub_nc_u32 v4, v0, v4
	v_subrev_nc_u32_e32 v6, s20, v4
	v_cmp_le_u32_e32 vcc_lo, s20, v4
	s_delay_alu instid0(VALU_DEP_2) | instskip(NEXT) | instid1(VALU_DEP_1)
	v_dual_cndmask_b32 v4, v4, v6 :: v_dual_cndmask_b32 v3, v3, v5
	v_cmp_le_u32_e32 vcc_lo, s20, v4
	s_delay_alu instid0(VALU_DEP_2) | instskip(NEXT) | instid1(VALU_DEP_1)
	v_add_nc_u32_e32 v5, 1, v3
	v_dual_cndmask_b32 v4, v3, v5 :: v_dual_mov_b32 v5, 0
.LBB0_13:
	s_or_b32 exec_lo, exec_lo, s2
	v_dual_mov_b32 v8, 0 :: v_dual_bitop2_b32 v9, s19, v1 bitop3:0x54
	s_cvt_f32_u32 s3, s18
	s_cvt_f32_u32 s28, s19
	s_sub_nc_u64 s[24:25], 0, s[18:19]
                                        ; implicit-def: $vgpr6_vgpr7
	s_mov_b32 s2, exec_lo
	v_cmpx_ne_u64_e32 0, v[8:9]
	s_xor_b32 s31, exec_lo, s2
	s_cbranch_execz .LBB0_15
; %bb.14:
	s_fmamk_f32 s2, s28, 0x4f800000, s3
	s_mov_b32 s39, 0
	v_dual_mov_b32 v6, v0 :: v_dual_mov_b32 v7, v8
	s_delay_alu instid0(SALU_CYCLE_1) | instskip(SKIP_2) | instid1(TRANS32_DEP_1)
	v_s_rcp_f32 s2, s2
	v_dual_mov_b32 v10, v1 :: v_dual_mov_b32 v11, v8
	v_dual_mov_b32 v17, v8 :: v_dual_mov_b32 v9, v8
	s_mul_f32 s2, s2, 0x5f7ffffc
	s_delay_alu instid0(SALU_CYCLE_3) | instskip(NEXT) | instid1(SALU_CYCLE_3)
	s_mul_f32 s33, s2, 0x2f800000
	s_trunc_f32 s33, s33
	s_delay_alu instid0(SALU_CYCLE_3) | instskip(SKIP_1) | instid1(SALU_CYCLE_2)
	s_fmamk_f32 s2, s33, 0xcf800000, s2
	s_cvt_u32_f32 s35, s33
	s_cvt_u32_f32 s34, s2
	s_delay_alu instid0(SALU_CYCLE_3) | instskip(NEXT) | instid1(SALU_CYCLE_1)
	s_mul_u64 s[36:37], s[24:25], s[34:35]
	s_mul_hi_u32 s41, s34, s37
	s_mul_i32 s40, s34, s37
	s_mul_hi_u32 s38, s34, s36
	s_mul_i32 s33, s35, s36
	s_add_nc_u64 s[40:41], s[38:39], s[40:41]
	s_mul_hi_u32 s2, s35, s36
	s_mul_hi_u32 s42, s35, s37
	s_add_co_u32 s33, s40, s33
	s_add_co_ci_u32 s38, s41, s2
	s_mul_i32 s36, s35, s37
	s_add_co_ci_u32 s37, s42, 0
	s_delay_alu instid0(SALU_CYCLE_1) | instskip(NEXT) | instid1(SALU_CYCLE_1)
	s_add_nc_u64 s[36:37], s[38:39], s[36:37]
	s_add_co_u32 s34, s34, s36
	s_cselect_b32 s2, -1, 0
	s_delay_alu instid0(SALU_CYCLE_1) | instskip(SKIP_1) | instid1(SALU_CYCLE_1)
	s_cmp_lg_u32 s2, 0
	s_add_co_ci_u32 s35, s35, s37
	s_mul_u64 s[36:37], s[24:25], s[34:35]
	s_delay_alu instid0(SALU_CYCLE_1)
	s_mul_hi_u32 s41, s34, s37
	s_mul_i32 s40, s34, s37
	s_mul_hi_u32 s38, s34, s36
	s_mul_i32 s33, s35, s36
	s_add_nc_u64 s[40:41], s[38:39], s[40:41]
	s_mul_hi_u32 s2, s35, s36
	s_mul_hi_u32 s42, s35, s37
	s_add_co_u32 s33, s40, s33
	s_add_co_ci_u32 s38, s41, s2
	s_mul_i32 s36, s35, s37
	s_add_co_ci_u32 s37, s42, 0
	s_delay_alu instid0(SALU_CYCLE_1) | instskip(NEXT) | instid1(SALU_CYCLE_1)
	s_add_nc_u64 s[36:37], s[38:39], s[36:37]
	s_add_co_u32 s2, s34, s36
	s_cselect_b32 s33, -1, 0
	v_mul_hi_u32 v16, v0, s2
	s_cmp_lg_u32 s33, 0
	s_add_co_ci_u32 s38, s35, s37
	s_mov_b64 s[34:35], 0xffffffff
	v_mul_u64_e32 v[6:7], s[38:39], v[6:7]
	s_and_b64 s[34:35], s[2:3], s[34:35]
	s_delay_alu instid0(SALU_CYCLE_1) | instskip(SKIP_1) | instid1(VALU_DEP_3)
	v_mul_u64_e32 v[14:15], s[34:35], v[10:11]
	v_mul_u64_e32 v[10:11], s[38:39], v[10:11]
	v_add_nc_u64_e32 v[6:7], v[16:17], v[6:7]
	s_delay_alu instid0(VALU_DEP_1) | instskip(NEXT) | instid1(VALU_DEP_2)
	v_add_co_u32 v3, vcc_lo, v6, v14
	v_add_co_ci_u32_e32 v8, vcc_lo, v7, v15, vcc_lo
	s_delay_alu instid0(VALU_DEP_4) | instskip(NEXT) | instid1(VALU_DEP_1)
	v_add_co_ci_u32_e32 v11, vcc_lo, 0, v11, vcc_lo
	v_add_nc_u64_e32 v[6:7], v[8:9], v[10:11]
	s_delay_alu instid0(VALU_DEP_1) | instskip(SKIP_1) | instid1(VALU_DEP_2)
	v_mul_u64_e32 v[8:9], s[18:19], v[6:7]
	v_add_nc_u64_e32 v[10:11], 2, v[6:7]
	v_sub_nc_u32_e32 v3, v1, v9
	s_delay_alu instid0(VALU_DEP_3) | instskip(NEXT) | instid1(VALU_DEP_1)
	v_sub_co_u32 v8, vcc_lo, v0, v8
	v_sub_co_ci_u32_e64 v15, null, v1, v9, vcc_lo
	s_delay_alu instid0(VALU_DEP_3) | instskip(NEXT) | instid1(VALU_DEP_3)
	v_subrev_co_ci_u32_e64 v3, null, s19, v3, vcc_lo
	v_sub_co_u32 v13, s2, v8, s18
	v_cmp_le_u32_e32 vcc_lo, s18, v8
	s_delay_alu instid0(VALU_DEP_3) | instskip(NEXT) | instid1(VALU_DEP_3)
	v_subrev_co_ci_u32_e64 v3, null, 0, v3, s2
	v_cmp_le_u32_e64 s2, s18, v13
	v_add_nc_u64_e32 v[8:9], 1, v[6:7]
	v_cndmask_b32_e64 v16, 0, -1, vcc_lo
	s_delay_alu instid0(VALU_DEP_4) | instskip(NEXT) | instid1(VALU_DEP_4)
	v_cmp_eq_u32_e32 vcc_lo, s19, v3
	v_cndmask_b32_e64 v13, 0, -1, s2
	v_cmp_le_u32_e64 s2, s19, v3
	s_delay_alu instid0(VALU_DEP_1) | instskip(SKIP_1) | instid1(VALU_DEP_2)
	v_cndmask_b32_e64 v14, 0, -1, s2
	v_cmp_eq_u32_e64 s2, s19, v15
	v_cndmask_b32_e32 v3, v14, v13, vcc_lo
	v_cmp_le_u32_e32 vcc_lo, s19, v15
	v_cndmask_b32_e64 v13, 0, -1, vcc_lo
	s_delay_alu instid0(VALU_DEP_3) | instskip(SKIP_1) | instid1(VALU_DEP_3)
	v_cmp_ne_u32_e32 vcc_lo, 0, v3
	v_cndmask_b32_e32 v9, v9, v11, vcc_lo
	v_dual_cndmask_b32 v3, v13, v16, s2 :: v_dual_cndmask_b32 v8, v8, v10, vcc_lo
	s_delay_alu instid0(VALU_DEP_1) | instskip(NEXT) | instid1(VALU_DEP_2)
	v_cmp_ne_u32_e32 vcc_lo, 0, v3
	v_dual_cndmask_b32 v7, v7, v9 :: v_dual_cndmask_b32 v6, v6, v8
.LBB0_15:
	s_or_saveexec_b32 s2, s31
	v_cvt_f32_u32_e32 v3, s18
	s_xor_b32 exec_lo, exec_lo, s2
	s_cbranch_execz .LBB0_17
; %bb.16:
	s_delay_alu instid0(VALU_DEP_1) | instskip(SKIP_2) | instid1(TRANS32_DEP_1)
	v_rcp_iflag_f32_e32 v6, v3
	s_sub_co_i32 s31, 0, s18
	v_nop
	v_mul_f32_e32 v6, 0x4f7ffffe, v6
	s_delay_alu instid0(VALU_DEP_1) | instskip(NEXT) | instid1(VALU_DEP_1)
	v_cvt_u32_f32_e32 v6, v6
	v_mul_lo_u32 v7, s31, v6
	s_delay_alu instid0(VALU_DEP_1) | instskip(NEXT) | instid1(VALU_DEP_1)
	v_mul_hi_u32 v7, v6, v7
	v_add_nc_u32_e32 v6, v6, v7
	s_delay_alu instid0(VALU_DEP_1) | instskip(NEXT) | instid1(VALU_DEP_1)
	v_mul_hi_u32 v6, v0, v6
	v_mul_lo_u32 v7, v6, s18
	s_delay_alu instid0(VALU_DEP_1) | instskip(NEXT) | instid1(VALU_DEP_1)
	v_dual_add_nc_u32 v8, 1, v6 :: v_dual_sub_nc_u32 v7, v0, v7
	v_subrev_nc_u32_e32 v9, s18, v7
	v_cmp_le_u32_e32 vcc_lo, s18, v7
	s_delay_alu instid0(VALU_DEP_2) | instskip(NEXT) | instid1(VALU_DEP_1)
	v_dual_cndmask_b32 v7, v7, v9 :: v_dual_cndmask_b32 v6, v6, v8
	v_cmp_le_u32_e32 vcc_lo, s18, v7
	s_delay_alu instid0(VALU_DEP_2) | instskip(NEXT) | instid1(VALU_DEP_1)
	v_dual_mov_b32 v7, 0 :: v_dual_add_nc_u32 v8, 1, v6
	v_cndmask_b32_e32 v6, v6, v8, vcc_lo
.LBB0_17:
	s_or_b32 exec_lo, exec_lo, s2
	s_delay_alu instid0(VALU_DEP_2) | instskip(SKIP_1) | instid1(VALU_DEP_1)
	v_dual_mov_b32 v10, 0 :: v_dual_bitop2_b32 v11, s21, v7 bitop3:0x54
                                        ; implicit-def: $vgpr8_vgpr9
	s_mov_b32 s2, exec_lo
	v_cmpx_ne_u64_e32 0, v[10:11]
	s_xor_b32 s31, exec_lo, s2
	s_cbranch_execz .LBB0_19
; %bb.18:
	s_fmamk_f32 s2, s30, 0x4f800000, s29
	s_mov_b32 s39, 0
	v_dual_mov_b32 v8, v6 :: v_dual_mov_b32 v9, v10
	s_delay_alu instid0(SALU_CYCLE_1) | instskip(SKIP_2) | instid1(TRANS32_DEP_1)
	v_s_rcp_f32 s2, s2
	v_dual_mov_b32 v12, v7 :: v_dual_mov_b32 v13, v10
	v_dual_mov_b32 v17, v10 :: v_dual_mov_b32 v11, v10
	s_mul_f32 s2, s2, 0x5f7ffffc
	s_delay_alu instid0(SALU_CYCLE_3) | instskip(NEXT) | instid1(SALU_CYCLE_3)
	s_mul_f32 s29, s2, 0x2f800000
	s_trunc_f32 s29, s29
	s_delay_alu instid0(SALU_CYCLE_3) | instskip(SKIP_1) | instid1(SALU_CYCLE_2)
	s_fmamk_f32 s2, s29, 0xcf800000, s2
	s_cvt_u32_f32 s35, s29
	s_cvt_u32_f32 s34, s2
	s_delay_alu instid0(SALU_CYCLE_3) | instskip(NEXT) | instid1(SALU_CYCLE_1)
	s_mul_u64 s[36:37], s[26:27], s[34:35]
	s_mul_hi_u32 s41, s34, s37
	s_mul_i32 s40, s34, s37
	s_mul_hi_u32 s38, s34, s36
	s_mul_i32 s29, s35, s36
	s_add_nc_u64 s[40:41], s[38:39], s[40:41]
	s_mul_hi_u32 s2, s35, s36
	s_mul_hi_u32 s30, s35, s37
	s_add_co_u32 s29, s40, s29
	s_add_co_ci_u32 s38, s41, s2
	s_mul_i32 s36, s35, s37
	s_add_co_ci_u32 s37, s30, 0
	s_delay_alu instid0(SALU_CYCLE_1) | instskip(NEXT) | instid1(SALU_CYCLE_1)
	s_add_nc_u64 s[36:37], s[38:39], s[36:37]
	s_add_co_u32 s34, s34, s36
	s_cselect_b32 s2, -1, 0
	s_delay_alu instid0(SALU_CYCLE_1) | instskip(SKIP_1) | instid1(SALU_CYCLE_1)
	s_cmp_lg_u32 s2, 0
	s_add_co_ci_u32 s35, s35, s37
	s_mul_u64 s[26:27], s[26:27], s[34:35]
	s_delay_alu instid0(SALU_CYCLE_1)
	s_mul_hi_u32 s37, s34, s27
	s_mul_i32 s36, s34, s27
	s_mul_hi_u32 s38, s34, s26
	s_mul_i32 s29, s35, s26
	s_add_nc_u64 s[36:37], s[38:39], s[36:37]
	s_mul_hi_u32 s2, s35, s26
	s_mul_hi_u32 s30, s35, s27
	s_mul_i32 s26, s35, s27
	s_add_co_u32 s27, s36, s29
	s_add_co_ci_u32 s38, s37, s2
	s_add_co_ci_u32 s27, s30, 0
	s_delay_alu instid0(SALU_CYCLE_1) | instskip(NEXT) | instid1(SALU_CYCLE_1)
	s_add_nc_u64 s[26:27], s[38:39], s[26:27]
	s_add_co_u32 s2, s34, s26
	s_cselect_b32 s26, -1, 0
	v_mul_hi_u32 v16, v6, s2
	s_cmp_lg_u32 s26, 0
	s_add_co_ci_u32 s38, s35, s27
	s_mov_b64 s[26:27], 0xffffffff
	v_mul_u64_e32 v[8:9], s[38:39], v[8:9]
	s_and_b64 s[26:27], s[2:3], s[26:27]
	s_delay_alu instid0(SALU_CYCLE_1) | instskip(SKIP_1) | instid1(VALU_DEP_3)
	v_mul_u64_e32 v[14:15], s[26:27], v[12:13]
	v_mul_u64_e32 v[12:13], s[38:39], v[12:13]
	v_add_nc_u64_e32 v[8:9], v[16:17], v[8:9]
	s_delay_alu instid0(VALU_DEP_1) | instskip(NEXT) | instid1(VALU_DEP_2)
	v_add_co_u32 v8, vcc_lo, v8, v14
	v_add_co_ci_u32_e32 v10, vcc_lo, v9, v15, vcc_lo
	s_delay_alu instid0(VALU_DEP_4) | instskip(NEXT) | instid1(VALU_DEP_1)
	v_add_co_ci_u32_e32 v13, vcc_lo, 0, v13, vcc_lo
	v_add_nc_u64_e32 v[8:9], v[10:11], v[12:13]
	s_delay_alu instid0(VALU_DEP_1) | instskip(NEXT) | instid1(VALU_DEP_1)
	v_mul_u64_e32 v[10:11], s[20:21], v[8:9]
	v_sub_nc_u32_e32 v12, v7, v11
	s_delay_alu instid0(VALU_DEP_2) | instskip(NEXT) | instid1(VALU_DEP_1)
	v_sub_co_u32 v6, vcc_lo, v6, v10
	v_sub_co_ci_u32_e64 v11, null, v7, v11, vcc_lo
	s_delay_alu instid0(VALU_DEP_3) | instskip(NEXT) | instid1(VALU_DEP_3)
	v_subrev_co_ci_u32_e64 v10, null, s21, v12, vcc_lo
	v_sub_co_u32 v14, s2, v6, s20
	v_cmp_le_u32_e32 vcc_lo, s20, v6
	s_delay_alu instid0(VALU_DEP_3) | instskip(NEXT) | instid1(VALU_DEP_3)
	v_subrev_co_ci_u32_e64 v10, null, 0, v10, s2
	v_cmp_le_u32_e64 s2, s20, v14
	v_add_nc_u64_e32 v[12:13], 2, v[8:9]
	v_cndmask_b32_e64 v16, 0, -1, vcc_lo
	s_delay_alu instid0(VALU_DEP_4) | instskip(SKIP_3) | instid1(VALU_DEP_1)
	v_cmp_eq_u32_e32 vcc_lo, s21, v10
	v_add_nc_u64_e32 v[6:7], 1, v[8:9]
	v_cndmask_b32_e64 v14, 0, -1, s2
	v_cmp_le_u32_e64 s2, s21, v10
	v_cndmask_b32_e64 v15, 0, -1, s2
	v_cmp_eq_u32_e64 s2, s21, v11
	s_delay_alu instid0(VALU_DEP_2) | instskip(SKIP_2) | instid1(VALU_DEP_3)
	v_cndmask_b32_e32 v10, v15, v14, vcc_lo
	v_cmp_le_u32_e32 vcc_lo, s21, v11
	v_cndmask_b32_e64 v14, 0, -1, vcc_lo
	v_cmp_ne_u32_e32 vcc_lo, 0, v10
	s_delay_alu instid0(VALU_DEP_2) | instskip(SKIP_1) | instid1(VALU_DEP_2)
	v_cndmask_b32_e64 v10, v14, v16, s2
	v_dual_cndmask_b32 v6, v6, v12 :: v_dual_cndmask_b32 v7, v7, v13
                                        ; implicit-def: $vgpr12
	v_cmp_ne_u32_e32 vcc_lo, 0, v10
	s_delay_alu instid0(VALU_DEP_2)
	v_dual_cndmask_b32 v8, v8, v6 :: v_dual_cndmask_b32 v9, v9, v7
                                        ; implicit-def: $vgpr6_vgpr7
.LBB0_19:
	s_and_not1_saveexec_b32 s2, s31
	s_cbranch_execz .LBB0_21
; %bb.20:
	v_rcp_iflag_f32_e32 v7, v12
	s_sub_co_i32 s26, 0, s20
	v_nop
	s_delay_alu instid0(TRANS32_DEP_1) | instskip(NEXT) | instid1(VALU_DEP_1)
	v_mul_f32_e32 v7, 0x4f7ffffe, v7
	v_cvt_u32_f32_e32 v7, v7
	s_delay_alu instid0(VALU_DEP_1) | instskip(NEXT) | instid1(VALU_DEP_1)
	v_mul_lo_u32 v8, s26, v7
	v_mul_hi_u32 v8, v7, v8
	s_delay_alu instid0(VALU_DEP_1) | instskip(NEXT) | instid1(VALU_DEP_1)
	v_add_nc_u32_e32 v7, v7, v8
	v_mul_hi_u32 v7, v6, v7
	s_delay_alu instid0(VALU_DEP_1) | instskip(NEXT) | instid1(VALU_DEP_1)
	v_mul_lo_u32 v8, v7, s20
	v_dual_sub_nc_u32 v6, v6, v8 :: v_dual_add_nc_u32 v8, 1, v7
	s_delay_alu instid0(VALU_DEP_1) | instskip(SKIP_1) | instid1(VALU_DEP_2)
	v_subrev_nc_u32_e32 v9, s20, v6
	v_cmp_le_u32_e32 vcc_lo, s20, v6
	v_dual_cndmask_b32 v6, v6, v9 :: v_dual_mov_b32 v9, 0
	s_delay_alu instid0(VALU_DEP_4) | instskip(NEXT) | instid1(VALU_DEP_2)
	v_cndmask_b32_e32 v7, v7, v8, vcc_lo
	v_cmp_le_u32_e32 vcc_lo, s20, v6
	s_delay_alu instid0(VALU_DEP_2) | instskip(NEXT) | instid1(VALU_DEP_1)
	v_add_nc_u32_e32 v8, 1, v7
	v_cndmask_b32_e32 v8, v7, v8, vcc_lo
.LBB0_21:
	s_or_b32 exec_lo, exec_lo, s2
	s_delay_alu instid0(VALU_DEP_1) | instskip(SKIP_1) | instid1(VALU_DEP_1)
	v_dual_mov_b32 v10, 0 :: v_dual_bitop2_b32 v11, s17, v9 bitop3:0x54
                                        ; implicit-def: $vgpr6_vgpr7
	s_mov_b32 s2, exec_lo
	v_cmpx_ne_u64_e32 0, v[10:11]
	s_xor_b32 s26, exec_lo, s2
	s_cbranch_execz .LBB0_23
; %bb.22:
	s_cvt_f32_u32 s2, s16
	s_cvt_f32_u32 s27, s17
	s_sub_nc_u64 s[34:35], 0, s[16:17]
	s_mov_b32 s39, 0
	v_dual_mov_b32 v6, v8 :: v_dual_mov_b32 v7, v10
	s_fmamk_f32 s2, s27, 0x4f800000, s2
	v_dual_mov_b32 v12, v9 :: v_dual_mov_b32 v13, v10
	v_dual_mov_b32 v17, v10 :: v_dual_mov_b32 v11, v10
	s_delay_alu instid0(SALU_CYCLE_1) | instskip(NEXT) | instid1(TRANS32_DEP_1)
	v_s_rcp_f32 s2, s2
	s_mul_f32 s2, s2, 0x5f7ffffc
	s_delay_alu instid0(SALU_CYCLE_3) | instskip(NEXT) | instid1(SALU_CYCLE_3)
	s_mul_f32 s27, s2, 0x2f800000
	s_trunc_f32 s27, s27
	s_delay_alu instid0(SALU_CYCLE_3) | instskip(SKIP_1) | instid1(SALU_CYCLE_2)
	s_fmamk_f32 s2, s27, 0xcf800000, s2
	s_cvt_u32_f32 s31, s27
	s_cvt_u32_f32 s30, s2
	s_delay_alu instid0(SALU_CYCLE_3) | instskip(NEXT) | instid1(SALU_CYCLE_1)
	s_mul_u64 s[36:37], s[34:35], s[30:31]
	s_mul_hi_u32 s41, s30, s37
	s_mul_i32 s40, s30, s37
	s_mul_hi_u32 s38, s30, s36
	s_mul_i32 s27, s31, s36
	s_add_nc_u64 s[40:41], s[38:39], s[40:41]
	s_mul_hi_u32 s2, s31, s36
	s_mul_hi_u32 s29, s31, s37
	s_add_co_u32 s27, s40, s27
	s_add_co_ci_u32 s38, s41, s2
	s_mul_i32 s36, s31, s37
	s_add_co_ci_u32 s37, s29, 0
	s_delay_alu instid0(SALU_CYCLE_1) | instskip(NEXT) | instid1(SALU_CYCLE_1)
	s_add_nc_u64 s[36:37], s[38:39], s[36:37]
	s_add_co_u32 s30, s30, s36
	s_cselect_b32 s2, -1, 0
	s_delay_alu instid0(SALU_CYCLE_1) | instskip(SKIP_1) | instid1(SALU_CYCLE_1)
	s_cmp_lg_u32 s2, 0
	s_add_co_ci_u32 s31, s31, s37
	s_mul_u64 s[34:35], s[34:35], s[30:31]
	s_delay_alu instid0(SALU_CYCLE_1)
	s_mul_hi_u32 s37, s30, s35
	s_mul_i32 s36, s30, s35
	s_mul_hi_u32 s38, s30, s34
	s_mul_i32 s27, s31, s34
	s_add_nc_u64 s[36:37], s[38:39], s[36:37]
	s_mul_hi_u32 s2, s31, s34
	s_mul_hi_u32 s29, s31, s35
	s_add_co_u32 s27, s36, s27
	s_add_co_ci_u32 s38, s37, s2
	s_mul_i32 s34, s31, s35
	s_add_co_ci_u32 s35, s29, 0
	s_delay_alu instid0(SALU_CYCLE_1) | instskip(NEXT) | instid1(SALU_CYCLE_1)
	s_add_nc_u64 s[34:35], s[38:39], s[34:35]
	s_add_co_u32 s2, s30, s34
	s_cselect_b32 s27, -1, 0
	v_nop
	v_mul_hi_u32 v16, v8, s2
	s_cmp_lg_u32 s27, 0
	s_add_co_ci_u32 s38, s31, s35
	s_mov_b64 s[30:31], 0xffffffff
	v_mul_u64_e32 v[6:7], s[38:39], v[6:7]
	s_and_b64 s[30:31], s[2:3], s[30:31]
	s_delay_alu instid0(SALU_CYCLE_1) | instskip(SKIP_1) | instid1(VALU_DEP_3)
	v_mul_u64_e32 v[14:15], s[30:31], v[12:13]
	v_mul_u64_e32 v[12:13], s[38:39], v[12:13]
	v_add_nc_u64_e32 v[6:7], v[16:17], v[6:7]
	s_delay_alu instid0(VALU_DEP_1) | instskip(NEXT) | instid1(VALU_DEP_2)
	v_add_co_u32 v6, vcc_lo, v6, v14
	v_add_co_ci_u32_e32 v10, vcc_lo, v7, v15, vcc_lo
	s_delay_alu instid0(VALU_DEP_4) | instskip(NEXT) | instid1(VALU_DEP_1)
	v_add_co_ci_u32_e32 v13, vcc_lo, 0, v13, vcc_lo
	v_add_nc_u64_e32 v[6:7], v[10:11], v[12:13]
	s_delay_alu instid0(VALU_DEP_1) | instskip(NEXT) | instid1(VALU_DEP_1)
	v_mul_u64_e32 v[6:7], s[16:17], v[6:7]
	v_sub_nc_u32_e32 v10, v9, v7
	s_delay_alu instid0(VALU_DEP_2) | instskip(NEXT) | instid1(VALU_DEP_1)
	v_sub_co_u32 v6, vcc_lo, v8, v6
	v_sub_co_ci_u32_e64 v7, null, v9, v7, vcc_lo
	s_delay_alu instid0(VALU_DEP_3) | instskip(NEXT) | instid1(VALU_DEP_3)
	v_subrev_co_ci_u32_e64 v8, null, s17, v10, vcc_lo
	v_sub_co_u32 v9, vcc_lo, v6, s16
	v_cmp_le_u32_e64 s2, s16, v6
	s_delay_alu instid0(VALU_DEP_3) | instskip(SKIP_1) | instid1(VALU_DEP_3)
	v_subrev_co_ci_u32_e64 v10, null, 0, v8, vcc_lo
	v_subrev_co_ci_u32_e64 v8, null, s17, v8, vcc_lo
	v_cndmask_b32_e64 v11, 0, -1, s2
	v_cmp_le_u32_e64 s2, s16, v9
	v_cmp_le_u32_e32 vcc_lo, s17, v7
	s_delay_alu instid0(VALU_DEP_2) | instskip(SKIP_3) | instid1(VALU_DEP_3)
	v_cndmask_b32_e64 v12, 0, -1, s2
	v_cmp_le_u32_e64 s2, s17, v10
	v_cndmask_b32_e64 v14, 0, -1, vcc_lo
	v_cmp_eq_u32_e32 vcc_lo, s17, v10
	v_cndmask_b32_e64 v13, 0, -1, s2
	s_delay_alu instid0(VALU_DEP_1) | instskip(SKIP_1) | instid1(VALU_DEP_1)
	v_cndmask_b32_e32 v10, v13, v12, vcc_lo
	v_sub_co_u32 v12, vcc_lo, v9, s16
	v_subrev_co_ci_u32_e64 v8, null, 0, v8, vcc_lo
	v_cmp_eq_u32_e32 vcc_lo, s17, v7
	v_cndmask_b32_e32 v7, v14, v11, vcc_lo
	v_cmp_ne_u32_e32 vcc_lo, 0, v10
	v_cndmask_b32_e32 v8, v9, v12, vcc_lo
	s_delay_alu instid0(VALU_DEP_3) | instskip(NEXT) | instid1(VALU_DEP_2)
	v_cmp_ne_u32_e32 vcc_lo, 0, v7
	v_cndmask_b32_e32 v6, v6, v8, vcc_lo
                                        ; implicit-def: $vgpr8_vgpr9
.LBB0_23:
	s_and_not1_saveexec_b32 s2, s26
	s_cbranch_execz .LBB0_25
; %bb.24:
	v_cvt_f32_u32_e32 v6, s16
	s_sub_co_i32 s26, 0, s16
	s_delay_alu instid0(VALU_DEP_1) | instskip(SKIP_1) | instid1(TRANS32_DEP_1)
	v_rcp_iflag_f32_e32 v6, v6
	v_nop
	v_mul_f32_e32 v6, 0x4f7ffffe, v6
	s_delay_alu instid0(VALU_DEP_1) | instskip(NEXT) | instid1(VALU_DEP_1)
	v_cvt_u32_f32_e32 v6, v6
	v_mul_lo_u32 v7, s26, v6
	s_delay_alu instid0(VALU_DEP_1) | instskip(NEXT) | instid1(VALU_DEP_1)
	v_mul_hi_u32 v7, v6, v7
	v_add_nc_u32_e32 v6, v6, v7
	s_delay_alu instid0(VALU_DEP_1) | instskip(NEXT) | instid1(VALU_DEP_1)
	v_mul_hi_u32 v6, v8, v6
	v_mul_lo_u32 v6, v6, s16
	s_delay_alu instid0(VALU_DEP_1) | instskip(NEXT) | instid1(VALU_DEP_1)
	v_sub_nc_u32_e32 v6, v8, v6
	v_subrev_nc_u32_e32 v7, s16, v6
	v_cmp_le_u32_e32 vcc_lo, s16, v6
	s_delay_alu instid0(VALU_DEP_2) | instskip(NEXT) | instid1(VALU_DEP_1)
	v_cndmask_b32_e32 v6, v6, v7, vcc_lo
	v_subrev_nc_u32_e32 v7, s16, v6
	v_cmp_le_u32_e32 vcc_lo, s16, v6
	s_delay_alu instid0(VALU_DEP_2)
	v_cndmask_b32_e32 v6, v6, v7, vcc_lo
.LBB0_25:
	s_or_b32 exec_lo, exec_lo, s2
	v_dual_mov_b32 v8, 0 :: v_dual_bitop2_b32 v9, s19, v5 bitop3:0x54
                                        ; implicit-def: $vgpr10_vgpr11
	s_mov_b32 s2, exec_lo
	s_delay_alu instid0(VALU_DEP_1)
	v_cmpx_ne_u64_e32 0, v[8:9]
	s_xor_b32 s26, exec_lo, s2
	s_cbranch_execz .LBB0_27
; %bb.26:
	s_fmamk_f32 s2, s28, 0x4f800000, s3
	s_mov_b32 s31, 0
	v_dual_mov_b32 v10, v4 :: v_dual_mov_b32 v11, v8
	s_delay_alu instid0(SALU_CYCLE_1) | instskip(SKIP_2) | instid1(TRANS32_DEP_1)
	v_s_rcp_f32 s2, s2
	v_dual_mov_b32 v12, v5 :: v_dual_mov_b32 v13, v8
	v_dual_mov_b32 v17, v8 :: v_dual_mov_b32 v9, v8
	s_mul_f32 s2, s2, 0x5f7ffffc
	s_delay_alu instid0(SALU_CYCLE_3) | instskip(NEXT) | instid1(SALU_CYCLE_3)
	s_mul_f32 s3, s2, 0x2f800000
	s_trunc_f32 s3, s3
	s_delay_alu instid0(SALU_CYCLE_3) | instskip(SKIP_1) | instid1(SALU_CYCLE_2)
	s_fmamk_f32 s2, s3, 0xcf800000, s2
	s_cvt_u32_f32 s3, s3
	s_cvt_u32_f32 s2, s2
	s_delay_alu instid0(SALU_CYCLE_3) | instskip(NEXT) | instid1(SALU_CYCLE_1)
	s_mul_u64 s[28:29], s[24:25], s[2:3]
	s_mul_hi_u32 s35, s2, s29
	s_mul_i32 s34, s2, s29
	s_mul_hi_u32 s30, s2, s28
	s_mul_i32 s33, s3, s28
	s_add_nc_u64 s[34:35], s[30:31], s[34:35]
	s_mul_hi_u32 s27, s3, s28
	s_mul_hi_u32 s36, s3, s29
	s_mul_i32 s28, s3, s29
	s_add_co_u32 s29, s34, s33
	s_add_co_ci_u32 s30, s35, s27
	s_add_co_ci_u32 s29, s36, 0
	s_delay_alu instid0(SALU_CYCLE_1) | instskip(NEXT) | instid1(SALU_CYCLE_1)
	s_add_nc_u64 s[28:29], s[30:31], s[28:29]
	s_add_co_u32 s2, s2, s28
	s_cselect_b32 s27, -1, 0
	s_delay_alu instid0(SALU_CYCLE_1) | instskip(SKIP_1) | instid1(SALU_CYCLE_1)
	s_cmp_lg_u32 s27, 0
	s_add_co_ci_u32 s3, s3, s29
	s_mul_u64 s[24:25], s[24:25], s[2:3]
	s_delay_alu instid0(SALU_CYCLE_1)
	s_mul_hi_u32 s29, s2, s25
	s_mul_i32 s28, s2, s25
	s_mul_hi_u32 s30, s2, s24
	s_mul_i32 s33, s3, s24
	s_add_nc_u64 s[28:29], s[30:31], s[28:29]
	s_mul_hi_u32 s27, s3, s24
	s_mul_hi_u32 s34, s3, s25
	s_mul_i32 s24, s3, s25
	s_add_co_u32 s25, s28, s33
	s_add_co_ci_u32 s30, s29, s27
	s_add_co_ci_u32 s25, s34, 0
	s_delay_alu instid0(SALU_CYCLE_1) | instskip(NEXT) | instid1(SALU_CYCLE_1)
	s_add_nc_u64 s[24:25], s[30:31], s[24:25]
	s_add_co_u32 s2, s2, s24
	s_cselect_b32 s24, -1, 0
	v_mul_hi_u32 v16, v4, s2
	s_cmp_lg_u32 s24, 0
	s_add_co_ci_u32 s30, s3, s25
	s_mov_b64 s[24:25], 0xffffffff
	v_mul_u64_e32 v[10:11], s[30:31], v[10:11]
	s_and_b64 s[24:25], s[2:3], s[24:25]
	s_delay_alu instid0(SALU_CYCLE_1) | instskip(SKIP_1) | instid1(VALU_DEP_3)
	v_mul_u64_e32 v[14:15], s[24:25], v[12:13]
	v_mul_u64_e32 v[12:13], s[30:31], v[12:13]
	v_add_nc_u64_e32 v[10:11], v[16:17], v[10:11]
	s_delay_alu instid0(VALU_DEP_1) | instskip(NEXT) | instid1(VALU_DEP_2)
	v_add_co_u32 v3, vcc_lo, v10, v14
	v_add_co_ci_u32_e32 v8, vcc_lo, v11, v15, vcc_lo
	s_delay_alu instid0(VALU_DEP_4) | instskip(NEXT) | instid1(VALU_DEP_1)
	v_add_co_ci_u32_e32 v13, vcc_lo, 0, v13, vcc_lo
	v_add_nc_u64_e32 v[8:9], v[8:9], v[12:13]
	s_delay_alu instid0(VALU_DEP_1) | instskip(NEXT) | instid1(VALU_DEP_1)
	v_mul_u64_e32 v[8:9], s[18:19], v[8:9]
	v_sub_nc_u32_e32 v3, v5, v9
	s_delay_alu instid0(VALU_DEP_2) | instskip(NEXT) | instid1(VALU_DEP_1)
	v_sub_co_u32 v7, vcc_lo, v4, v8
	v_sub_co_ci_u32_e64 v5, null, v5, v9, vcc_lo
	s_delay_alu instid0(VALU_DEP_3) | instskip(NEXT) | instid1(VALU_DEP_3)
	v_subrev_co_ci_u32_e64 v3, null, s19, v3, vcc_lo
	v_sub_co_u32 v8, vcc_lo, v7, s18
	v_cmp_le_u32_e64 s2, s18, v7
	s_delay_alu instid0(VALU_DEP_3) | instskip(SKIP_1) | instid1(VALU_DEP_3)
	v_subrev_co_ci_u32_e64 v9, null, 0, v3, vcc_lo
	v_subrev_co_ci_u32_e64 v3, null, s19, v3, vcc_lo
	v_cndmask_b32_e64 v10, 0, -1, s2
	v_cmp_le_u32_e64 s2, s18, v8
	v_cmp_le_u32_e32 vcc_lo, s19, v5
	s_delay_alu instid0(VALU_DEP_2) | instskip(SKIP_3) | instid1(VALU_DEP_3)
	v_cndmask_b32_e64 v11, 0, -1, s2
	v_cmp_le_u32_e64 s2, s19, v9
	v_cndmask_b32_e64 v13, 0, -1, vcc_lo
	v_cmp_eq_u32_e32 vcc_lo, s19, v9
	v_cndmask_b32_e64 v12, 0, -1, s2
	s_delay_alu instid0(VALU_DEP_1) | instskip(SKIP_1) | instid1(VALU_DEP_1)
	v_cndmask_b32_e32 v9, v12, v11, vcc_lo
	v_sub_co_u32 v11, vcc_lo, v8, s18
	v_subrev_co_ci_u32_e64 v3, null, 0, v3, vcc_lo
	v_cmp_eq_u32_e32 vcc_lo, s19, v5
	v_cndmask_b32_e32 v3, v13, v10, vcc_lo
	v_cmp_ne_u32_e32 vcc_lo, 0, v9
	v_cndmask_b32_e32 v5, v8, v11, vcc_lo
	s_delay_alu instid0(VALU_DEP_3) | instskip(NEXT) | instid1(VALU_DEP_2)
	v_cmp_ne_u32_e32 vcc_lo, 0, v3
                                        ; implicit-def: $vgpr3
	v_cndmask_b32_e32 v10, v7, v5, vcc_lo
.LBB0_27:
	s_and_not1_saveexec_b32 s2, s26
	s_cbranch_execz .LBB0_29
; %bb.28:
	v_rcp_iflag_f32_e32 v3, v3
	s_sub_co_i32 s3, 0, s18
	v_nop
	s_delay_alu instid0(TRANS32_DEP_1) | instskip(NEXT) | instid1(VALU_DEP_1)
	v_mul_f32_e32 v3, 0x4f7ffffe, v3
	v_cvt_u32_f32_e32 v3, v3
	s_delay_alu instid0(VALU_DEP_1) | instskip(NEXT) | instid1(VALU_DEP_1)
	v_mul_lo_u32 v5, s3, v3
	v_mul_hi_u32 v5, v3, v5
	s_delay_alu instid0(VALU_DEP_1) | instskip(NEXT) | instid1(VALU_DEP_1)
	v_add_nc_u32_e32 v3, v3, v5
	v_mul_hi_u32 v3, v4, v3
	s_delay_alu instid0(VALU_DEP_1) | instskip(NEXT) | instid1(VALU_DEP_1)
	v_mul_lo_u32 v3, v3, s18
	v_sub_nc_u32_e32 v3, v4, v3
	s_delay_alu instid0(VALU_DEP_1) | instskip(SKIP_1) | instid1(VALU_DEP_2)
	v_subrev_nc_u32_e32 v5, s18, v3
	v_cmp_le_u32_e32 vcc_lo, s18, v3
	v_cndmask_b32_e32 v3, v3, v5, vcc_lo
	s_delay_alu instid0(VALU_DEP_1) | instskip(SKIP_1) | instid1(VALU_DEP_2)
	v_subrev_nc_u32_e32 v5, s18, v3
	v_cmp_le_u32_e32 vcc_lo, s18, v3
	v_cndmask_b32_e32 v10, v3, v5, vcc_lo
.LBB0_29:
	s_or_b32 exec_lo, exec_lo, s2
	s_load_b96 s[0:2], s[0:1], 0x50
	v_mul_lo_u32 v3, v4, s20
	s_delay_alu instid0(VALU_DEP_2) | instskip(SKIP_1) | instid1(VALU_DEP_3)
	v_cvt_f32_i32_e32 v4, v10
	v_cvt_f32_i32_e32 v5, v6
	v_sub_nc_u32_e32 v3, v0, v3
	v_lshl_add_u64 v[0:1], v[0:1], 3, s[22:23]
	s_wait_kmcnt 0x0
	v_mul_f32_e32 v6, s1, v4
	s_delay_alu instid0(VALU_DEP_3) | instskip(SKIP_2) | instid1(SALU_CYCLE_1)
	v_cvt_f32_i32_e32 v3, v3
	v_mul_f32_e32 v5, s0, v5
	s_mul_u64 s[0:1], s[14:15], s[12:13]
	s_mul_u64 s[0:1], s[0:1], s[10:11]
	s_delay_alu instid0(VALU_DEP_2) | instskip(SKIP_1) | instid1(SALU_CYCLE_1)
	v_mul_f32_e32 v3, s2, v3
	s_mul_u64 s[2:3], s[20:21], s[18:19]
	s_mul_u64 s[2:3], s[2:3], s[16:17]
	s_delay_alu instid0(VALU_DEP_1) | instskip(SKIP_1) | instid1(SALU_CYCLE_1)
	v_floor_f32_e32 v3, v3
	s_mul_u64 s[2:3], s[2:3], s[8:9]
	s_lshl_b64 s[2:3], s[2:3], 3
	s_delay_alu instid0(VALU_DEP_1) | instskip(NEXT) | instid1(VALU_DEP_1)
	v_cvt_i32_f32_e32 v3, v3
	v_add_min_i32_e64 v4, s14, -1, v3
	v_floor_f32_e32 v3, v6
	v_floor_f32_e32 v6, v5
	s_delay_alu instid0(VALU_DEP_2) | instskip(NEXT) | instid1(VALU_DEP_2)
	v_cvt_i32_f32_e32 v3, v3
	v_cvt_i32_f32_e32 v7, v6
	s_delay_alu instid0(VALU_DEP_2) | instskip(SKIP_1) | instid1(VALU_DEP_3)
	v_add_min_i32_e64 v6, s12, -1, v3
	v_ashrrev_i32_e32 v5, 31, v4
	v_add_min_i32_e64 v3, s10, -1, v7
	v_ashrrev_i32_e32 v8, 31, v2
	s_delay_alu instid0(VALU_DEP_4) | instskip(NEXT) | instid1(VALU_DEP_4)
	v_ashrrev_i32_e32 v7, 31, v6
	v_mad_nc_u64_u32 v[4:5], v2, s0, v[4:5]
	s_delay_alu instid0(VALU_DEP_2) | instskip(NEXT) | instid1(VALU_DEP_2)
	v_mad_nc_u64_u32 v[6:7], s12, v3, v[6:7]
	v_mad_u32 v5, v8, s0, v5
	s_delay_alu instid0(VALU_DEP_2) | instskip(NEXT) | instid1(VALU_DEP_2)
	v_mad_u32 v7, s13, v3, v7
	v_mad_u32 v5, v2, s1, v5
	v_ashrrev_i32_e32 v2, 31, v3
	s_mul_u64 s[0:1], s[0:1], s[8:9]
	s_mov_b64 s[8:9], 0
	s_delay_alu instid0(VALU_DEP_1) | instskip(NEXT) | instid1(VALU_DEP_3)
	v_mad_u32 v7, s12, v2, v7
	v_mad_nc_u64_u32 v[2:3], v6, s14, v[4:5]
	s_delay_alu instid0(VALU_DEP_1) | instskip(NEXT) | instid1(VALU_DEP_1)
	v_mad_u32 v3, v7, s14, v3
	v_mad_u32 v3, v6, s15, v3
.LBB0_30:                               ; =>This Inner Loop Header: Depth=1
	s_delay_alu instid0(VALU_DEP_1)
	v_lshl_add_u64 v[4:5], v[2:3], 3, s[4:5]
	s_add_nc_u64 s[8:9], s[8:9], 1
	v_add_nc_u64_e32 v[2:3], s[0:1], v[2:3]
	v_cmp_gt_u64_e64 s10, s[6:7], s[8:9]
	global_load_b64 v[4:5], v[4:5], off
	s_and_b32 vcc_lo, exec_lo, s10
	s_wait_loadcnt 0x0
	global_store_b64 v[0:1], v[4:5], off
	s_wait_xcnt 0x0
	v_add_nc_u64_e32 v[0:1], s[2:3], v[0:1]
	s_cbranch_vccnz .LBB0_30
.LBB0_31:
	s_endpgm
	.section	.rodata,"a",@progbits
	.p2align	6, 0x0
	.amdhsa_kernel _ZN2at6native12_GLOBAL__N_128upsample_nearest3d_out_frameIdXadL_ZNS0_37nearest_neighbor_compute_source_indexEfiiEEEEvPKT_mmmmmmmmPS3_fff
		.amdhsa_group_segment_fixed_size 0
		.amdhsa_private_segment_fixed_size 0
		.amdhsa_kernarg_size 352
		.amdhsa_user_sgpr_count 2
		.amdhsa_user_sgpr_dispatch_ptr 0
		.amdhsa_user_sgpr_queue_ptr 0
		.amdhsa_user_sgpr_kernarg_segment_ptr 1
		.amdhsa_user_sgpr_dispatch_id 0
		.amdhsa_user_sgpr_kernarg_preload_length 0
		.amdhsa_user_sgpr_kernarg_preload_offset 0
		.amdhsa_user_sgpr_private_segment_size 0
		.amdhsa_wavefront_size32 1
		.amdhsa_uses_dynamic_stack 0
		.amdhsa_enable_private_segment 0
		.amdhsa_system_sgpr_workgroup_id_x 1
		.amdhsa_system_sgpr_workgroup_id_y 0
		.amdhsa_system_sgpr_workgroup_id_z 0
		.amdhsa_system_sgpr_workgroup_info 0
		.amdhsa_system_vgpr_workitem_id 0
		.amdhsa_next_free_vgpr 18
		.amdhsa_next_free_sgpr 43
		.amdhsa_named_barrier_count 0
		.amdhsa_reserve_vcc 1
		.amdhsa_float_round_mode_32 0
		.amdhsa_float_round_mode_16_64 0
		.amdhsa_float_denorm_mode_32 3
		.amdhsa_float_denorm_mode_16_64 3
		.amdhsa_fp16_overflow 0
		.amdhsa_memory_ordered 1
		.amdhsa_forward_progress 1
		.amdhsa_inst_pref_size 43
		.amdhsa_round_robin_scheduling 0
		.amdhsa_exception_fp_ieee_invalid_op 0
		.amdhsa_exception_fp_denorm_src 0
		.amdhsa_exception_fp_ieee_div_zero 0
		.amdhsa_exception_fp_ieee_overflow 0
		.amdhsa_exception_fp_ieee_underflow 0
		.amdhsa_exception_fp_ieee_inexact 0
		.amdhsa_exception_int_div_zero 0
	.end_amdhsa_kernel
	.section	.text._ZN2at6native12_GLOBAL__N_128upsample_nearest3d_out_frameIdXadL_ZNS0_37nearest_neighbor_compute_source_indexEfiiEEEEvPKT_mmmmmmmmPS3_fff,"axG",@progbits,_ZN2at6native12_GLOBAL__N_128upsample_nearest3d_out_frameIdXadL_ZNS0_37nearest_neighbor_compute_source_indexEfiiEEEEvPKT_mmmmmmmmPS3_fff,comdat
.Lfunc_end0:
	.size	_ZN2at6native12_GLOBAL__N_128upsample_nearest3d_out_frameIdXadL_ZNS0_37nearest_neighbor_compute_source_indexEfiiEEEEvPKT_mmmmmmmmPS3_fff, .Lfunc_end0-_ZN2at6native12_GLOBAL__N_128upsample_nearest3d_out_frameIdXadL_ZNS0_37nearest_neighbor_compute_source_indexEfiiEEEEvPKT_mmmmmmmmPS3_fff
                                        ; -- End function
	.set _ZN2at6native12_GLOBAL__N_128upsample_nearest3d_out_frameIdXadL_ZNS0_37nearest_neighbor_compute_source_indexEfiiEEEEvPKT_mmmmmmmmPS3_fff.num_vgpr, 18
	.set _ZN2at6native12_GLOBAL__N_128upsample_nearest3d_out_frameIdXadL_ZNS0_37nearest_neighbor_compute_source_indexEfiiEEEEvPKT_mmmmmmmmPS3_fff.num_agpr, 0
	.set _ZN2at6native12_GLOBAL__N_128upsample_nearest3d_out_frameIdXadL_ZNS0_37nearest_neighbor_compute_source_indexEfiiEEEEvPKT_mmmmmmmmPS3_fff.numbered_sgpr, 43
	.set _ZN2at6native12_GLOBAL__N_128upsample_nearest3d_out_frameIdXadL_ZNS0_37nearest_neighbor_compute_source_indexEfiiEEEEvPKT_mmmmmmmmPS3_fff.num_named_barrier, 0
	.set _ZN2at6native12_GLOBAL__N_128upsample_nearest3d_out_frameIdXadL_ZNS0_37nearest_neighbor_compute_source_indexEfiiEEEEvPKT_mmmmmmmmPS3_fff.private_seg_size, 0
	.set _ZN2at6native12_GLOBAL__N_128upsample_nearest3d_out_frameIdXadL_ZNS0_37nearest_neighbor_compute_source_indexEfiiEEEEvPKT_mmmmmmmmPS3_fff.uses_vcc, 1
	.set _ZN2at6native12_GLOBAL__N_128upsample_nearest3d_out_frameIdXadL_ZNS0_37nearest_neighbor_compute_source_indexEfiiEEEEvPKT_mmmmmmmmPS3_fff.uses_flat_scratch, 0
	.set _ZN2at6native12_GLOBAL__N_128upsample_nearest3d_out_frameIdXadL_ZNS0_37nearest_neighbor_compute_source_indexEfiiEEEEvPKT_mmmmmmmmPS3_fff.has_dyn_sized_stack, 0
	.set _ZN2at6native12_GLOBAL__N_128upsample_nearest3d_out_frameIdXadL_ZNS0_37nearest_neighbor_compute_source_indexEfiiEEEEvPKT_mmmmmmmmPS3_fff.has_recursion, 0
	.set _ZN2at6native12_GLOBAL__N_128upsample_nearest3d_out_frameIdXadL_ZNS0_37nearest_neighbor_compute_source_indexEfiiEEEEvPKT_mmmmmmmmPS3_fff.has_indirect_call, 0
	.section	.AMDGPU.csdata,"",@progbits
; Kernel info:
; codeLenInByte = 5392
; TotalNumSgprs: 45
; NumVgprs: 18
; ScratchSize: 0
; MemoryBound: 0
; FloatMode: 240
; IeeeMode: 1
; LDSByteSize: 0 bytes/workgroup (compile time only)
; SGPRBlocks: 0
; VGPRBlocks: 1
; NumSGPRsForWavesPerEU: 45
; NumVGPRsForWavesPerEU: 18
; NamedBarCnt: 0
; Occupancy: 16
; WaveLimiterHint : 0
; COMPUTE_PGM_RSRC2:SCRATCH_EN: 0
; COMPUTE_PGM_RSRC2:USER_SGPR: 2
; COMPUTE_PGM_RSRC2:TRAP_HANDLER: 0
; COMPUTE_PGM_RSRC2:TGID_X_EN: 1
; COMPUTE_PGM_RSRC2:TGID_Y_EN: 0
; COMPUTE_PGM_RSRC2:TGID_Z_EN: 0
; COMPUTE_PGM_RSRC2:TIDIG_COMP_CNT: 0
	.section	.text._ZN2at6native12_GLOBAL__N_128upsample_nearest3d_out_frameIfXadL_ZNS0_37nearest_neighbor_compute_source_indexEfiiEEEEvPKT_mmmmmmmmPS3_fff,"axG",@progbits,_ZN2at6native12_GLOBAL__N_128upsample_nearest3d_out_frameIfXadL_ZNS0_37nearest_neighbor_compute_source_indexEfiiEEEEvPKT_mmmmmmmmPS3_fff,comdat
	.globl	_ZN2at6native12_GLOBAL__N_128upsample_nearest3d_out_frameIfXadL_ZNS0_37nearest_neighbor_compute_source_indexEfiiEEEEvPKT_mmmmmmmmPS3_fff ; -- Begin function _ZN2at6native12_GLOBAL__N_128upsample_nearest3d_out_frameIfXadL_ZNS0_37nearest_neighbor_compute_source_indexEfiiEEEEvPKT_mmmmmmmmPS3_fff
	.p2align	8
	.type	_ZN2at6native12_GLOBAL__N_128upsample_nearest3d_out_frameIfXadL_ZNS0_37nearest_neighbor_compute_source_indexEfiiEEEEvPKT_mmmmmmmmPS3_fff,@function
_ZN2at6native12_GLOBAL__N_128upsample_nearest3d_out_frameIfXadL_ZNS0_37nearest_neighbor_compute_source_indexEfiiEEEEvPKT_mmmmmmmmPS3_fff: ; @_ZN2at6native12_GLOBAL__N_128upsample_nearest3d_out_frameIfXadL_ZNS0_37nearest_neighbor_compute_source_indexEfiiEEEEvPKT_mmmmmmmmPS3_fff
; %bb.0:
	s_clause 0x2
	s_load_b32 s2, s[0:1], 0x6c
	s_load_b512 s[4:19], s[0:1], 0x0
	s_load_b128 s[20:23], s[0:1], 0x40
	s_bfe_u32 s3, ttmp6, 0x4000c
	v_mov_b32_e32 v2, 0
	s_add_co_i32 s3, s3, 1
	s_and_b32 s24, ttmp6, 15
	s_mul_i32 s3, ttmp9, s3
	s_getreg_b32 s25, hwreg(HW_REG_IB_STS2, 6, 4)
	v_mov_b32_e32 v1, v2
	s_add_co_i32 s24, s24, s3
	s_wait_kmcnt 0x0
	s_and_b32 s2, s2, 0xffff
	s_cmp_eq_u32 s25, 0
	s_cselect_b32 s3, ttmp9, s24
	s_cmp_lg_u64 s[6:7], 0
	v_mad_nc_u64_u32 v[0:1], s2, s3, v[0:1]
	s_mul_u64 s[2:3], s[18:19], s[16:17]
	s_delay_alu instid0(SALU_CYCLE_1) | instskip(NEXT) | instid1(SALU_CYCLE_1)
	s_mul_u64 s[24:25], s[2:3], s[8:9]
	s_mul_u64 s[24:25], s[24:25], s[20:21]
	s_delay_alu instid0(VALU_DEP_1) | instid1(SALU_CYCLE_1)
	v_cmp_gt_u64_e32 vcc_lo, s[24:25], v[0:1]
	s_cselect_b32 s24, -1, 0
	s_delay_alu instid0(SALU_CYCLE_1) | instskip(NEXT) | instid1(SALU_CYCLE_1)
	s_and_b32 s24, vcc_lo, s24
	s_and_saveexec_b32 s25, s24
	s_cbranch_execz .LBB1_31
; %bb.1:
	s_mul_u64 s[24:25], s[2:3], s[20:21]
                                        ; implicit-def: $vgpr4_vgpr5
	s_mov_b32 s2, exec_lo
	v_or_b32_e32 v3, s25, v1
	s_delay_alu instid0(VALU_DEP_1)
	v_cmpx_ne_u64_e32 0, v[2:3]
	s_xor_b32 s3, exec_lo, s2
	s_cbranch_execz .LBB1_3
; %bb.2:
	s_ashr_i32 s26, s25, 31
	s_mov_b32 s39, 0
	s_mov_b32 s27, s26
	v_dual_mov_b32 v7, 0 :: v_dual_ashrrev_i32 v2, 31, v1
	s_add_nc_u64 s[28:29], s[24:25], s[26:27]
	s_delay_alu instid0(SALU_CYCLE_1) | instskip(NEXT) | instid1(VALU_DEP_1)
	s_xor_b64 s[28:29], s[28:29], s[26:27]
	v_mov_b32_e32 v3, v2
	s_cvt_f32_u32 s2, s28
	s_cvt_f32_u32 s25, s29
	s_sub_nc_u64 s[34:35], 0, s[28:29]
	s_delay_alu instid0(VALU_DEP_1) | instskip(NEXT) | instid1(SALU_CYCLE_1)
	v_add_nc_u64_e32 v[4:5], v[0:1], v[2:3]
	s_fmamk_f32 s2, s25, 0x4f800000, s2
	v_mov_b32_e32 v9, v7
	s_delay_alu instid0(SALU_CYCLE_2) | instskip(NEXT) | instid1(VALU_DEP_2)
	v_s_rcp_f32 s2, s2
	v_xor_b32_e32 v6, v4, v2
	s_delay_alu instid0(VALU_DEP_3) | instskip(SKIP_1) | instid1(TRANS32_DEP_1)
	v_dual_mov_b32 v15, v7 :: v_dual_bitop2_b32 v8, v5, v2 bitop3:0x14
	v_xor_b32_e32 v2, s26, v2
	s_mul_f32 s2, s2, 0x5f7ffffc
	s_delay_alu instid0(SALU_CYCLE_3) | instskip(NEXT) | instid1(SALU_CYCLE_3)
	s_mul_f32 s25, s2, 0x2f800000
	s_trunc_f32 s25, s25
	s_delay_alu instid0(SALU_CYCLE_3) | instskip(SKIP_1) | instid1(SALU_CYCLE_2)
	s_fmamk_f32 s2, s25, 0xcf800000, s2
	s_cvt_u32_f32 s31, s25
	s_cvt_u32_f32 s30, s2
	s_delay_alu instid0(SALU_CYCLE_3) | instskip(NEXT) | instid1(SALU_CYCLE_1)
	s_mul_u64 s[36:37], s[34:35], s[30:31]
	s_mul_hi_u32 s41, s30, s37
	s_mul_i32 s40, s30, s37
	s_mul_hi_u32 s38, s30, s36
	s_mul_i32 s25, s31, s36
	s_add_nc_u64 s[40:41], s[38:39], s[40:41]
	s_mul_hi_u32 s2, s31, s36
	s_mul_hi_u32 s27, s31, s37
	s_add_co_u32 s25, s40, s25
	s_add_co_ci_u32 s38, s41, s2
	s_mul_i32 s36, s31, s37
	s_add_co_ci_u32 s37, s27, 0
	s_delay_alu instid0(SALU_CYCLE_1) | instskip(NEXT) | instid1(SALU_CYCLE_1)
	s_add_nc_u64 s[36:37], s[38:39], s[36:37]
	s_add_co_u32 s30, s30, s36
	s_cselect_b32 s2, -1, 0
	s_delay_alu instid0(SALU_CYCLE_1) | instskip(SKIP_1) | instid1(SALU_CYCLE_1)
	s_cmp_lg_u32 s2, 0
	s_add_co_ci_u32 s31, s31, s37
	s_mul_u64 s[34:35], s[34:35], s[30:31]
	s_delay_alu instid0(SALU_CYCLE_1)
	s_mul_hi_u32 s37, s30, s35
	s_mul_i32 s36, s30, s35
	s_mul_hi_u32 s38, s30, s34
	s_mul_i32 s25, s31, s34
	s_add_nc_u64 s[36:37], s[38:39], s[36:37]
	s_mul_hi_u32 s2, s31, s34
	s_mul_hi_u32 s27, s31, s35
	s_add_co_u32 s25, s36, s25
	s_add_co_ci_u32 s38, s37, s2
	s_mul_i32 s34, s31, s35
	s_add_co_ci_u32 s35, s27, 0
	s_delay_alu instid0(SALU_CYCLE_1) | instskip(NEXT) | instid1(SALU_CYCLE_1)
	s_add_nc_u64 s[34:35], s[38:39], s[34:35]
	s_add_co_u32 s2, s30, s34
	s_cselect_b32 s25, -1, 0
	v_mul_hi_u32 v14, v6, s2
	s_cmp_lg_u32 s25, 0
	s_add_co_ci_u32 s38, s31, s35
	s_mov_b64 s[30:31], 0xffffffff
	v_mul_u64_e32 v[10:11], s[38:39], v[6:7]
	s_and_b64 s[30:31], s[2:3], s[30:31]
	v_mul_u64_e32 v[12:13], s[38:39], v[8:9]
	v_mul_u64_e32 v[4:5], s[30:31], v[8:9]
	s_delay_alu instid0(VALU_DEP_3) | instskip(NEXT) | instid1(VALU_DEP_1)
	v_add_nc_u64_e32 v[10:11], v[14:15], v[10:11]
	v_add_co_u32 v3, vcc_lo, v10, v4
	s_delay_alu instid0(VALU_DEP_2) | instskip(SKIP_1) | instid1(VALU_DEP_1)
	v_add_co_ci_u32_e32 v14, vcc_lo, v11, v5, vcc_lo
	v_add_co_ci_u32_e32 v13, vcc_lo, 0, v13, vcc_lo
	v_add_nc_u64_e32 v[4:5], v[14:15], v[12:13]
	s_delay_alu instid0(VALU_DEP_1) | instskip(NEXT) | instid1(VALU_DEP_1)
	v_mul_u64_e32 v[10:11], s[28:29], v[4:5]
	v_sub_nc_u32_e32 v3, v8, v11
	s_delay_alu instid0(VALU_DEP_2) | instskip(NEXT) | instid1(VALU_DEP_1)
	v_sub_co_u32 v6, vcc_lo, v6, v10
	v_sub_co_ci_u32_e64 v10, null, v8, v11, vcc_lo
	s_delay_alu instid0(VALU_DEP_3) | instskip(NEXT) | instid1(VALU_DEP_3)
	v_subrev_co_ci_u32_e64 v3, null, s29, v3, vcc_lo
	v_sub_co_u32 v7, s2, v6, s28
	s_delay_alu instid0(VALU_DEP_1) | instskip(NEXT) | instid1(VALU_DEP_2)
	v_subrev_co_ci_u32_e64 v3, null, 0, v3, s2
	v_cmp_le_u32_e32 vcc_lo, s28, v7
	v_cndmask_b32_e64 v7, 0, -1, vcc_lo
	s_delay_alu instid0(VALU_DEP_3)
	v_cmp_le_u32_e32 vcc_lo, s29, v3
	v_cndmask_b32_e64 v8, 0, -1, vcc_lo
	v_cmp_le_u32_e32 vcc_lo, s28, v6
	v_cndmask_b32_e64 v11, 0, -1, vcc_lo
	;; [unrolled: 2-line block ×3, first 2 shown]
	v_cmp_eq_u32_e32 vcc_lo, s29, v3
	v_cndmask_b32_e32 v3, v8, v7, vcc_lo
	v_cmp_eq_u32_e32 vcc_lo, s29, v10
	v_add_nc_u64_e32 v[6:7], 2, v[4:5]
	v_add_nc_u64_e32 v[8:9], 1, v[4:5]
	v_cndmask_b32_e32 v10, v12, v11, vcc_lo
	v_cmp_ne_u32_e32 vcc_lo, 0, v3
	s_delay_alu instid0(VALU_DEP_2) | instskip(NEXT) | instid1(VALU_DEP_4)
	v_cmp_ne_u32_e64 s2, 0, v10
	v_dual_cndmask_b32 v6, v8, v6 :: v_dual_cndmask_b32 v3, v9, v7
	s_delay_alu instid0(VALU_DEP_1) | instskip(NEXT) | instid1(VALU_DEP_1)
	v_dual_cndmask_b32 v4, v4, v6, s2 :: v_dual_cndmask_b32 v5, v5, v3, s2
	v_dual_mov_b32 v3, v2 :: v_dual_bitop2_b32 v4, v4, v2 bitop3:0x14
	s_delay_alu instid0(VALU_DEP_2) | instskip(NEXT) | instid1(VALU_DEP_1)
	v_xor_b32_e32 v5, v5, v2
	v_sub_nc_u64_e32 v[4:5], v[4:5], v[2:3]
.LBB1_3:
	s_and_not1_saveexec_b32 s2, s3
	s_cbranch_execz .LBB1_5
; %bb.4:
	v_cvt_f32_u32_e32 v2, s24
	s_sub_co_i32 s3, 0, s24
	s_delay_alu instid0(VALU_DEP_1) | instskip(SKIP_1) | instid1(TRANS32_DEP_1)
	v_rcp_iflag_f32_e32 v2, v2
	v_nop
	v_mul_f32_e32 v2, 0x4f7ffffe, v2
	s_delay_alu instid0(VALU_DEP_1) | instskip(NEXT) | instid1(VALU_DEP_1)
	v_cvt_u32_f32_e32 v2, v2
	v_mul_lo_u32 v3, s3, v2
	s_delay_alu instid0(VALU_DEP_1) | instskip(NEXT) | instid1(VALU_DEP_1)
	v_mul_hi_u32 v3, v2, v3
	v_add_nc_u32_e32 v2, v2, v3
	s_delay_alu instid0(VALU_DEP_1) | instskip(NEXT) | instid1(VALU_DEP_1)
	v_mul_hi_u32 v2, v0, v2
	v_mul_lo_u32 v3, v2, s24
	s_delay_alu instid0(VALU_DEP_1) | instskip(NEXT) | instid1(VALU_DEP_1)
	v_dual_add_nc_u32 v4, 1, v2 :: v_dual_sub_nc_u32 v3, v0, v3
	v_subrev_nc_u32_e32 v5, s24, v3
	v_cmp_le_u32_e32 vcc_lo, s24, v3
	s_delay_alu instid0(VALU_DEP_2) | instskip(NEXT) | instid1(VALU_DEP_4)
	v_dual_cndmask_b32 v3, v3, v5, vcc_lo :: v_dual_mov_b32 v5, 0
	v_cndmask_b32_e32 v2, v2, v4, vcc_lo
	s_delay_alu instid0(VALU_DEP_2) | instskip(NEXT) | instid1(VALU_DEP_2)
	v_cmp_le_u32_e32 vcc_lo, s24, v3
	v_add_nc_u32_e32 v4, 1, v2
	s_delay_alu instid0(VALU_DEP_1)
	v_cndmask_b32_e32 v4, v2, v4, vcc_lo
.LBB1_5:
	s_or_b32 exec_lo, exec_lo, s2
	s_delay_alu instid0(VALU_DEP_1) | instskip(SKIP_1) | instid1(VALU_DEP_1)
	v_dual_mov_b32 v6, 0 :: v_dual_bitop2_b32 v7, s9, v5 bitop3:0x54
                                        ; implicit-def: $vgpr2_vgpr3
	s_mov_b32 s2, exec_lo
	v_cmpx_ne_u64_e32 0, v[6:7]
	s_xor_b32 s3, exec_lo, s2
	s_cbranch_execz .LBB1_7
; %bb.6:
	s_cvt_f32_u32 s2, s8
	s_cvt_f32_u32 s24, s9
	s_sub_nc_u64 s[26:27], 0, s[8:9]
	s_mov_b32 s31, 0
	v_dual_mov_b32 v2, v4 :: v_dual_mov_b32 v3, v6
	s_fmamk_f32 s2, s24, 0x4f800000, s2
	v_dual_mov_b32 v8, v5 :: v_dual_mov_b32 v9, v6
	v_dual_mov_b32 v13, v6 :: v_dual_mov_b32 v7, v6
	s_delay_alu instid0(SALU_CYCLE_1) | instskip(NEXT) | instid1(TRANS32_DEP_1)
	v_s_rcp_f32 s2, s2
	s_mul_f32 s2, s2, 0x5f7ffffc
	s_delay_alu instid0(SALU_CYCLE_3) | instskip(NEXT) | instid1(SALU_CYCLE_3)
	s_mul_f32 s24, s2, 0x2f800000
	s_trunc_f32 s24, s24
	s_delay_alu instid0(SALU_CYCLE_3) | instskip(SKIP_1) | instid1(SALU_CYCLE_2)
	s_fmamk_f32 s2, s24, 0xcf800000, s2
	s_cvt_u32_f32 s25, s24
	s_cvt_u32_f32 s24, s2
	s_delay_alu instid0(SALU_CYCLE_3) | instskip(NEXT) | instid1(SALU_CYCLE_1)
	s_mul_u64 s[28:29], s[26:27], s[24:25]
	s_mul_hi_u32 s35, s24, s29
	s_mul_i32 s34, s24, s29
	s_mul_hi_u32 s30, s24, s28
	s_mul_i32 s33, s25, s28
	s_add_nc_u64 s[34:35], s[30:31], s[34:35]
	s_mul_hi_u32 s2, s25, s28
	s_mul_hi_u32 s36, s25, s29
	s_mul_i32 s28, s25, s29
	s_add_co_u32 s29, s34, s33
	s_add_co_ci_u32 s30, s35, s2
	s_add_co_ci_u32 s29, s36, 0
	s_delay_alu instid0(SALU_CYCLE_1) | instskip(NEXT) | instid1(SALU_CYCLE_1)
	s_add_nc_u64 s[28:29], s[30:31], s[28:29]
	s_add_co_u32 s24, s24, s28
	s_cselect_b32 s2, -1, 0
	s_delay_alu instid0(SALU_CYCLE_1) | instskip(SKIP_1) | instid1(SALU_CYCLE_1)
	s_cmp_lg_u32 s2, 0
	s_add_co_ci_u32 s25, s25, s29
	s_mul_u64 s[26:27], s[26:27], s[24:25]
	s_delay_alu instid0(SALU_CYCLE_1)
	s_mul_hi_u32 s29, s24, s27
	s_mul_i32 s28, s24, s27
	s_mul_hi_u32 s30, s24, s26
	s_mul_i32 s33, s25, s26
	s_add_nc_u64 s[28:29], s[30:31], s[28:29]
	s_mul_hi_u32 s2, s25, s26
	s_mul_hi_u32 s34, s25, s27
	s_mul_i32 s26, s25, s27
	s_add_co_u32 s27, s28, s33
	s_add_co_ci_u32 s30, s29, s2
	s_add_co_ci_u32 s27, s34, 0
	s_delay_alu instid0(SALU_CYCLE_1) | instskip(NEXT) | instid1(SALU_CYCLE_1)
	s_add_nc_u64 s[26:27], s[30:31], s[26:27]
	s_add_co_u32 s2, s24, s26
	s_cselect_b32 s24, -1, 0
	v_nop
	v_mul_hi_u32 v12, v4, s2
	s_cmp_lg_u32 s24, 0
	s_add_co_ci_u32 s30, s25, s27
	s_mov_b64 s[24:25], 0xffffffff
	v_mul_u64_e32 v[2:3], s[30:31], v[2:3]
	s_and_b64 s[24:25], s[2:3], s[24:25]
	s_delay_alu instid0(SALU_CYCLE_1) | instskip(SKIP_1) | instid1(VALU_DEP_3)
	v_mul_u64_e32 v[10:11], s[24:25], v[8:9]
	v_mul_u64_e32 v[8:9], s[30:31], v[8:9]
	v_add_nc_u64_e32 v[2:3], v[12:13], v[2:3]
	s_delay_alu instid0(VALU_DEP_1) | instskip(NEXT) | instid1(VALU_DEP_2)
	v_add_co_u32 v2, vcc_lo, v2, v10
	v_add_co_ci_u32_e32 v6, vcc_lo, v3, v11, vcc_lo
	s_delay_alu instid0(VALU_DEP_4) | instskip(NEXT) | instid1(VALU_DEP_1)
	v_add_co_ci_u32_e32 v9, vcc_lo, 0, v9, vcc_lo
	v_add_nc_u64_e32 v[2:3], v[6:7], v[8:9]
	s_delay_alu instid0(VALU_DEP_1) | instskip(NEXT) | instid1(VALU_DEP_1)
	v_mul_u64_e32 v[2:3], s[8:9], v[2:3]
	v_sub_nc_u32_e32 v6, v5, v3
	s_delay_alu instid0(VALU_DEP_2) | instskip(NEXT) | instid1(VALU_DEP_1)
	v_sub_co_u32 v2, vcc_lo, v4, v2
	v_sub_co_ci_u32_e64 v3, null, v5, v3, vcc_lo
	s_delay_alu instid0(VALU_DEP_3) | instskip(NEXT) | instid1(VALU_DEP_3)
	v_subrev_co_ci_u32_e64 v4, null, s9, v6, vcc_lo
	v_sub_co_u32 v5, vcc_lo, v2, s8
	v_cmp_le_u32_e64 s2, s8, v2
	s_delay_alu instid0(VALU_DEP_3) | instskip(SKIP_1) | instid1(VALU_DEP_3)
	v_subrev_co_ci_u32_e64 v6, null, 0, v4, vcc_lo
	v_subrev_co_ci_u32_e64 v4, null, s9, v4, vcc_lo
	v_cndmask_b32_e64 v7, 0, -1, s2
	v_cmp_le_u32_e64 s2, s8, v5
	v_cmp_le_u32_e32 vcc_lo, s9, v3
	s_delay_alu instid0(VALU_DEP_2) | instskip(SKIP_3) | instid1(VALU_DEP_3)
	v_cndmask_b32_e64 v8, 0, -1, s2
	v_cmp_le_u32_e64 s2, s9, v6
	v_cndmask_b32_e64 v10, 0, -1, vcc_lo
	v_cmp_eq_u32_e32 vcc_lo, s9, v6
	v_cndmask_b32_e64 v9, 0, -1, s2
	s_delay_alu instid0(VALU_DEP_1) | instskip(SKIP_1) | instid1(VALU_DEP_1)
	v_cndmask_b32_e32 v6, v9, v8, vcc_lo
	v_sub_co_u32 v8, vcc_lo, v5, s8
	v_subrev_co_ci_u32_e64 v4, null, 0, v4, vcc_lo
	v_cmp_eq_u32_e32 vcc_lo, s9, v3
	v_cndmask_b32_e32 v3, v10, v7, vcc_lo
	v_cmp_ne_u32_e32 vcc_lo, 0, v6
	v_cndmask_b32_e32 v4, v5, v8, vcc_lo
	s_delay_alu instid0(VALU_DEP_3) | instskip(NEXT) | instid1(VALU_DEP_2)
	v_cmp_ne_u32_e32 vcc_lo, 0, v3
	v_cndmask_b32_e32 v2, v2, v4, vcc_lo
                                        ; implicit-def: $vgpr4_vgpr5
.LBB1_7:
	s_and_not1_saveexec_b32 s2, s3
	s_cbranch_execz .LBB1_9
; %bb.8:
	v_cvt_f32_u32_e32 v2, s8
	s_sub_co_i32 s3, 0, s8
	s_delay_alu instid0(VALU_DEP_1) | instskip(SKIP_1) | instid1(TRANS32_DEP_1)
	v_rcp_iflag_f32_e32 v2, v2
	v_nop
	v_mul_f32_e32 v2, 0x4f7ffffe, v2
	s_delay_alu instid0(VALU_DEP_1) | instskip(NEXT) | instid1(VALU_DEP_1)
	v_cvt_u32_f32_e32 v2, v2
	v_mul_lo_u32 v3, s3, v2
	s_delay_alu instid0(VALU_DEP_1) | instskip(NEXT) | instid1(VALU_DEP_1)
	v_mul_hi_u32 v3, v2, v3
	v_add_nc_u32_e32 v2, v2, v3
	s_delay_alu instid0(VALU_DEP_1) | instskip(NEXT) | instid1(VALU_DEP_1)
	v_mul_hi_u32 v2, v4, v2
	v_mul_lo_u32 v2, v2, s8
	s_delay_alu instid0(VALU_DEP_1) | instskip(NEXT) | instid1(VALU_DEP_1)
	v_sub_nc_u32_e32 v2, v4, v2
	v_subrev_nc_u32_e32 v3, s8, v2
	v_cmp_le_u32_e32 vcc_lo, s8, v2
	s_delay_alu instid0(VALU_DEP_2) | instskip(NEXT) | instid1(VALU_DEP_1)
	v_cndmask_b32_e32 v2, v2, v3, vcc_lo
	v_subrev_nc_u32_e32 v3, s8, v2
	v_cmp_le_u32_e32 vcc_lo, s8, v2
	s_delay_alu instid0(VALU_DEP_2)
	v_cndmask_b32_e32 v2, v2, v3, vcc_lo
.LBB1_9:
	s_or_b32 exec_lo, exec_lo, s2
	v_dual_mov_b32 v6, 0 :: v_dual_bitop2_b32 v7, s21, v1 bitop3:0x54
	s_cvt_f32_u32 s29, s20
	s_cvt_f32_u32 s30, s21
	s_sub_nc_u64 s[26:27], 0, s[20:21]
                                        ; implicit-def: $vgpr4_vgpr5
	s_mov_b32 s2, exec_lo
	v_cmpx_ne_u64_e32 0, v[6:7]
	s_xor_b32 s3, exec_lo, s2
	s_cbranch_execz .LBB1_11
; %bb.10:
	s_fmamk_f32 s2, s30, 0x4f800000, s29
	s_mov_b32 s37, 0
	v_dual_mov_b32 v4, v0 :: v_dual_mov_b32 v5, v6
	s_delay_alu instid0(SALU_CYCLE_1) | instskip(SKIP_2) | instid1(TRANS32_DEP_1)
	v_s_rcp_f32 s2, s2
	v_dual_mov_b32 v8, v1 :: v_dual_mov_b32 v9, v6
	v_dual_mov_b32 v13, v6 :: v_dual_mov_b32 v7, v6
	s_mul_f32 s2, s2, 0x5f7ffffc
	s_delay_alu instid0(SALU_CYCLE_3) | instskip(NEXT) | instid1(SALU_CYCLE_3)
	s_mul_f32 s24, s2, 0x2f800000
	s_trunc_f32 s24, s24
	s_delay_alu instid0(SALU_CYCLE_3) | instskip(SKIP_1) | instid1(SALU_CYCLE_2)
	s_fmamk_f32 s2, s24, 0xcf800000, s2
	s_cvt_u32_f32 s25, s24
	s_cvt_u32_f32 s24, s2
	s_delay_alu instid0(SALU_CYCLE_3) | instskip(NEXT) | instid1(SALU_CYCLE_1)
	s_mul_u64 s[34:35], s[26:27], s[24:25]
	s_mul_hi_u32 s39, s24, s35
	s_mul_i32 s38, s24, s35
	s_mul_hi_u32 s36, s24, s34
	s_mul_i32 s28, s25, s34
	s_add_nc_u64 s[38:39], s[36:37], s[38:39]
	s_mul_hi_u32 s2, s25, s34
	s_mul_hi_u32 s31, s25, s35
	s_add_co_u32 s28, s38, s28
	s_add_co_ci_u32 s36, s39, s2
	s_mul_i32 s34, s25, s35
	s_add_co_ci_u32 s35, s31, 0
	s_delay_alu instid0(SALU_CYCLE_1) | instskip(NEXT) | instid1(SALU_CYCLE_1)
	s_add_nc_u64 s[34:35], s[36:37], s[34:35]
	s_add_co_u32 s24, s24, s34
	s_cselect_b32 s2, -1, 0
	s_delay_alu instid0(SALU_CYCLE_1) | instskip(SKIP_1) | instid1(SALU_CYCLE_1)
	s_cmp_lg_u32 s2, 0
	s_add_co_ci_u32 s25, s25, s35
	s_mul_u64 s[34:35], s[26:27], s[24:25]
	s_delay_alu instid0(SALU_CYCLE_1)
	s_mul_hi_u32 s39, s24, s35
	s_mul_i32 s38, s24, s35
	s_mul_hi_u32 s36, s24, s34
	s_mul_i32 s28, s25, s34
	s_add_nc_u64 s[38:39], s[36:37], s[38:39]
	s_mul_hi_u32 s2, s25, s34
	s_mul_hi_u32 s31, s25, s35
	s_add_co_u32 s28, s38, s28
	s_add_co_ci_u32 s36, s39, s2
	s_mul_i32 s34, s25, s35
	s_add_co_ci_u32 s35, s31, 0
	s_delay_alu instid0(SALU_CYCLE_1) | instskip(NEXT) | instid1(SALU_CYCLE_1)
	s_add_nc_u64 s[34:35], s[36:37], s[34:35]
	s_add_co_u32 s2, s24, s34
	s_cselect_b32 s24, -1, 0
	v_mul_hi_u32 v12, v0, s2
	s_cmp_lg_u32 s24, 0
	s_add_co_ci_u32 s36, s25, s35
	s_mov_b64 s[24:25], 0xffffffff
	v_mul_u64_e32 v[4:5], s[36:37], v[4:5]
	s_and_b64 s[24:25], s[2:3], s[24:25]
	s_delay_alu instid0(SALU_CYCLE_1) | instskip(SKIP_1) | instid1(VALU_DEP_3)
	v_mul_u64_e32 v[10:11], s[24:25], v[8:9]
	v_mul_u64_e32 v[8:9], s[36:37], v[8:9]
	v_add_nc_u64_e32 v[4:5], v[12:13], v[4:5]
	s_delay_alu instid0(VALU_DEP_1) | instskip(NEXT) | instid1(VALU_DEP_2)
	v_add_co_u32 v3, vcc_lo, v4, v10
	v_add_co_ci_u32_e32 v6, vcc_lo, v5, v11, vcc_lo
	s_delay_alu instid0(VALU_DEP_4) | instskip(NEXT) | instid1(VALU_DEP_1)
	v_add_co_ci_u32_e32 v9, vcc_lo, 0, v9, vcc_lo
	v_add_nc_u64_e32 v[4:5], v[6:7], v[8:9]
	s_delay_alu instid0(VALU_DEP_1) | instskip(SKIP_1) | instid1(VALU_DEP_2)
	v_mul_u64_e32 v[6:7], s[20:21], v[4:5]
	v_add_nc_u64_e32 v[8:9], 2, v[4:5]
	v_sub_nc_u32_e32 v3, v1, v7
	s_delay_alu instid0(VALU_DEP_3) | instskip(NEXT) | instid1(VALU_DEP_1)
	v_sub_co_u32 v6, vcc_lo, v0, v6
	v_sub_co_ci_u32_e64 v12, null, v1, v7, vcc_lo
	s_delay_alu instid0(VALU_DEP_3) | instskip(NEXT) | instid1(VALU_DEP_3)
	v_subrev_co_ci_u32_e64 v3, null, s21, v3, vcc_lo
	v_sub_co_u32 v10, s2, v6, s20
	v_cmp_le_u32_e32 vcc_lo, s20, v6
	s_delay_alu instid0(VALU_DEP_3) | instskip(NEXT) | instid1(VALU_DEP_3)
	v_subrev_co_ci_u32_e64 v3, null, 0, v3, s2
	v_cmp_le_u32_e64 s2, s20, v10
	v_add_nc_u64_e32 v[6:7], 1, v[4:5]
	v_cndmask_b32_e64 v13, 0, -1, vcc_lo
	s_delay_alu instid0(VALU_DEP_4) | instskip(NEXT) | instid1(VALU_DEP_4)
	v_cmp_eq_u32_e32 vcc_lo, s21, v3
	v_cndmask_b32_e64 v10, 0, -1, s2
	v_cmp_le_u32_e64 s2, s21, v3
	s_delay_alu instid0(VALU_DEP_1) | instskip(SKIP_1) | instid1(VALU_DEP_2)
	v_cndmask_b32_e64 v11, 0, -1, s2
	v_cmp_eq_u32_e64 s2, s21, v12
	v_cndmask_b32_e32 v3, v11, v10, vcc_lo
	v_cmp_le_u32_e32 vcc_lo, s21, v12
	v_cndmask_b32_e64 v10, 0, -1, vcc_lo
	s_delay_alu instid0(VALU_DEP_3) | instskip(SKIP_1) | instid1(VALU_DEP_3)
	v_cmp_ne_u32_e32 vcc_lo, 0, v3
	v_cndmask_b32_e32 v7, v7, v9, vcc_lo
	v_cndmask_b32_e64 v3, v10, v13, s2
	v_cndmask_b32_e32 v6, v6, v8, vcc_lo
	s_delay_alu instid0(VALU_DEP_2) | instskip(NEXT) | instid1(VALU_DEP_2)
	v_cmp_ne_u32_e32 vcc_lo, 0, v3
	v_dual_cndmask_b32 v5, v5, v7 :: v_dual_cndmask_b32 v4, v4, v6
.LBB1_11:
	s_or_saveexec_b32 s2, s3
	v_cvt_f32_u32_e32 v12, s20
	s_xor_b32 exec_lo, exec_lo, s2
	s_cbranch_execz .LBB1_13
; %bb.12:
	s_delay_alu instid0(VALU_DEP_1) | instskip(SKIP_2) | instid1(TRANS32_DEP_1)
	v_rcp_iflag_f32_e32 v3, v12
	s_sub_co_i32 s3, 0, s20
	v_nop
	v_mul_f32_e32 v3, 0x4f7ffffe, v3
	s_delay_alu instid0(VALU_DEP_1) | instskip(NEXT) | instid1(VALU_DEP_1)
	v_cvt_u32_f32_e32 v3, v3
	v_mul_lo_u32 v4, s3, v3
	s_delay_alu instid0(VALU_DEP_1) | instskip(NEXT) | instid1(VALU_DEP_1)
	v_mul_hi_u32 v4, v3, v4
	v_add_nc_u32_e32 v3, v3, v4
	s_delay_alu instid0(VALU_DEP_1) | instskip(NEXT) | instid1(VALU_DEP_1)
	v_mul_hi_u32 v3, v0, v3
	v_mul_lo_u32 v4, v3, s20
	s_delay_alu instid0(VALU_DEP_1) | instskip(NEXT) | instid1(VALU_DEP_1)
	v_dual_add_nc_u32 v5, 1, v3 :: v_dual_sub_nc_u32 v4, v0, v4
	v_subrev_nc_u32_e32 v6, s20, v4
	v_cmp_le_u32_e32 vcc_lo, s20, v4
	s_delay_alu instid0(VALU_DEP_2) | instskip(NEXT) | instid1(VALU_DEP_1)
	v_dual_cndmask_b32 v4, v4, v6 :: v_dual_cndmask_b32 v3, v3, v5
	v_cmp_le_u32_e32 vcc_lo, s20, v4
	s_delay_alu instid0(VALU_DEP_2) | instskip(NEXT) | instid1(VALU_DEP_1)
	v_add_nc_u32_e32 v5, 1, v3
	v_dual_cndmask_b32 v4, v3, v5 :: v_dual_mov_b32 v5, 0
.LBB1_13:
	s_or_b32 exec_lo, exec_lo, s2
	v_dual_mov_b32 v8, 0 :: v_dual_bitop2_b32 v9, s19, v1 bitop3:0x54
	s_cvt_f32_u32 s3, s18
	s_cvt_f32_u32 s28, s19
	s_sub_nc_u64 s[24:25], 0, s[18:19]
                                        ; implicit-def: $vgpr6_vgpr7
	s_mov_b32 s2, exec_lo
	v_cmpx_ne_u64_e32 0, v[8:9]
	s_xor_b32 s31, exec_lo, s2
	s_cbranch_execz .LBB1_15
; %bb.14:
	s_fmamk_f32 s2, s28, 0x4f800000, s3
	s_mov_b32 s39, 0
	v_dual_mov_b32 v6, v0 :: v_dual_mov_b32 v7, v8
	s_delay_alu instid0(SALU_CYCLE_1) | instskip(SKIP_2) | instid1(TRANS32_DEP_1)
	v_s_rcp_f32 s2, s2
	v_dual_mov_b32 v10, v1 :: v_dual_mov_b32 v11, v8
	v_dual_mov_b32 v17, v8 :: v_dual_mov_b32 v9, v8
	s_mul_f32 s2, s2, 0x5f7ffffc
	s_delay_alu instid0(SALU_CYCLE_3) | instskip(NEXT) | instid1(SALU_CYCLE_3)
	s_mul_f32 s33, s2, 0x2f800000
	s_trunc_f32 s33, s33
	s_delay_alu instid0(SALU_CYCLE_3) | instskip(SKIP_1) | instid1(SALU_CYCLE_2)
	s_fmamk_f32 s2, s33, 0xcf800000, s2
	s_cvt_u32_f32 s35, s33
	s_cvt_u32_f32 s34, s2
	s_delay_alu instid0(SALU_CYCLE_3) | instskip(NEXT) | instid1(SALU_CYCLE_1)
	s_mul_u64 s[36:37], s[24:25], s[34:35]
	s_mul_hi_u32 s41, s34, s37
	s_mul_i32 s40, s34, s37
	s_mul_hi_u32 s38, s34, s36
	s_mul_i32 s33, s35, s36
	s_add_nc_u64 s[40:41], s[38:39], s[40:41]
	s_mul_hi_u32 s2, s35, s36
	s_mul_hi_u32 s42, s35, s37
	s_add_co_u32 s33, s40, s33
	s_add_co_ci_u32 s38, s41, s2
	s_mul_i32 s36, s35, s37
	s_add_co_ci_u32 s37, s42, 0
	s_delay_alu instid0(SALU_CYCLE_1) | instskip(NEXT) | instid1(SALU_CYCLE_1)
	s_add_nc_u64 s[36:37], s[38:39], s[36:37]
	s_add_co_u32 s34, s34, s36
	s_cselect_b32 s2, -1, 0
	s_delay_alu instid0(SALU_CYCLE_1) | instskip(SKIP_1) | instid1(SALU_CYCLE_1)
	s_cmp_lg_u32 s2, 0
	s_add_co_ci_u32 s35, s35, s37
	s_mul_u64 s[36:37], s[24:25], s[34:35]
	s_delay_alu instid0(SALU_CYCLE_1)
	s_mul_hi_u32 s41, s34, s37
	s_mul_i32 s40, s34, s37
	s_mul_hi_u32 s38, s34, s36
	s_mul_i32 s33, s35, s36
	s_add_nc_u64 s[40:41], s[38:39], s[40:41]
	s_mul_hi_u32 s2, s35, s36
	s_mul_hi_u32 s42, s35, s37
	s_add_co_u32 s33, s40, s33
	s_add_co_ci_u32 s38, s41, s2
	s_mul_i32 s36, s35, s37
	s_add_co_ci_u32 s37, s42, 0
	s_delay_alu instid0(SALU_CYCLE_1) | instskip(NEXT) | instid1(SALU_CYCLE_1)
	s_add_nc_u64 s[36:37], s[38:39], s[36:37]
	s_add_co_u32 s2, s34, s36
	s_cselect_b32 s33, -1, 0
	v_mul_hi_u32 v16, v0, s2
	s_cmp_lg_u32 s33, 0
	s_add_co_ci_u32 s38, s35, s37
	s_mov_b64 s[34:35], 0xffffffff
	v_mul_u64_e32 v[6:7], s[38:39], v[6:7]
	s_and_b64 s[34:35], s[2:3], s[34:35]
	s_delay_alu instid0(SALU_CYCLE_1) | instskip(SKIP_1) | instid1(VALU_DEP_3)
	v_mul_u64_e32 v[14:15], s[34:35], v[10:11]
	v_mul_u64_e32 v[10:11], s[38:39], v[10:11]
	v_add_nc_u64_e32 v[6:7], v[16:17], v[6:7]
	s_delay_alu instid0(VALU_DEP_1) | instskip(NEXT) | instid1(VALU_DEP_2)
	v_add_co_u32 v3, vcc_lo, v6, v14
	v_add_co_ci_u32_e32 v8, vcc_lo, v7, v15, vcc_lo
	s_delay_alu instid0(VALU_DEP_4) | instskip(NEXT) | instid1(VALU_DEP_1)
	v_add_co_ci_u32_e32 v11, vcc_lo, 0, v11, vcc_lo
	v_add_nc_u64_e32 v[6:7], v[8:9], v[10:11]
	s_delay_alu instid0(VALU_DEP_1) | instskip(SKIP_1) | instid1(VALU_DEP_2)
	v_mul_u64_e32 v[8:9], s[18:19], v[6:7]
	v_add_nc_u64_e32 v[10:11], 2, v[6:7]
	v_sub_nc_u32_e32 v3, v1, v9
	s_delay_alu instid0(VALU_DEP_3) | instskip(NEXT) | instid1(VALU_DEP_1)
	v_sub_co_u32 v8, vcc_lo, v0, v8
	v_sub_co_ci_u32_e64 v15, null, v1, v9, vcc_lo
	s_delay_alu instid0(VALU_DEP_3) | instskip(NEXT) | instid1(VALU_DEP_3)
	v_subrev_co_ci_u32_e64 v3, null, s19, v3, vcc_lo
	v_sub_co_u32 v13, s2, v8, s18
	v_cmp_le_u32_e32 vcc_lo, s18, v8
	s_delay_alu instid0(VALU_DEP_3) | instskip(NEXT) | instid1(VALU_DEP_3)
	v_subrev_co_ci_u32_e64 v3, null, 0, v3, s2
	v_cmp_le_u32_e64 s2, s18, v13
	v_add_nc_u64_e32 v[8:9], 1, v[6:7]
	v_cndmask_b32_e64 v16, 0, -1, vcc_lo
	s_delay_alu instid0(VALU_DEP_4) | instskip(NEXT) | instid1(VALU_DEP_4)
	v_cmp_eq_u32_e32 vcc_lo, s19, v3
	v_cndmask_b32_e64 v13, 0, -1, s2
	v_cmp_le_u32_e64 s2, s19, v3
	s_delay_alu instid0(VALU_DEP_1) | instskip(SKIP_1) | instid1(VALU_DEP_2)
	v_cndmask_b32_e64 v14, 0, -1, s2
	v_cmp_eq_u32_e64 s2, s19, v15
	v_cndmask_b32_e32 v3, v14, v13, vcc_lo
	v_cmp_le_u32_e32 vcc_lo, s19, v15
	v_cndmask_b32_e64 v13, 0, -1, vcc_lo
	s_delay_alu instid0(VALU_DEP_3) | instskip(SKIP_1) | instid1(VALU_DEP_3)
	v_cmp_ne_u32_e32 vcc_lo, 0, v3
	v_cndmask_b32_e32 v9, v9, v11, vcc_lo
	v_dual_cndmask_b32 v3, v13, v16, s2 :: v_dual_cndmask_b32 v8, v8, v10, vcc_lo
	s_delay_alu instid0(VALU_DEP_1) | instskip(NEXT) | instid1(VALU_DEP_2)
	v_cmp_ne_u32_e32 vcc_lo, 0, v3
	v_dual_cndmask_b32 v7, v7, v9 :: v_dual_cndmask_b32 v6, v6, v8
.LBB1_15:
	s_or_saveexec_b32 s2, s31
	v_cvt_f32_u32_e32 v3, s18
	s_xor_b32 exec_lo, exec_lo, s2
	s_cbranch_execz .LBB1_17
; %bb.16:
	s_delay_alu instid0(VALU_DEP_1) | instskip(SKIP_2) | instid1(TRANS32_DEP_1)
	v_rcp_iflag_f32_e32 v6, v3
	s_sub_co_i32 s31, 0, s18
	v_nop
	v_mul_f32_e32 v6, 0x4f7ffffe, v6
	s_delay_alu instid0(VALU_DEP_1) | instskip(NEXT) | instid1(VALU_DEP_1)
	v_cvt_u32_f32_e32 v6, v6
	v_mul_lo_u32 v7, s31, v6
	s_delay_alu instid0(VALU_DEP_1) | instskip(NEXT) | instid1(VALU_DEP_1)
	v_mul_hi_u32 v7, v6, v7
	v_add_nc_u32_e32 v6, v6, v7
	s_delay_alu instid0(VALU_DEP_1) | instskip(NEXT) | instid1(VALU_DEP_1)
	v_mul_hi_u32 v6, v0, v6
	v_mul_lo_u32 v7, v6, s18
	s_delay_alu instid0(VALU_DEP_1) | instskip(NEXT) | instid1(VALU_DEP_1)
	v_dual_add_nc_u32 v8, 1, v6 :: v_dual_sub_nc_u32 v7, v0, v7
	v_subrev_nc_u32_e32 v9, s18, v7
	v_cmp_le_u32_e32 vcc_lo, s18, v7
	s_delay_alu instid0(VALU_DEP_2) | instskip(NEXT) | instid1(VALU_DEP_1)
	v_dual_cndmask_b32 v7, v7, v9 :: v_dual_cndmask_b32 v6, v6, v8
	v_cmp_le_u32_e32 vcc_lo, s18, v7
	s_delay_alu instid0(VALU_DEP_2) | instskip(NEXT) | instid1(VALU_DEP_1)
	v_dual_mov_b32 v7, 0 :: v_dual_add_nc_u32 v8, 1, v6
	v_cndmask_b32_e32 v6, v6, v8, vcc_lo
.LBB1_17:
	s_or_b32 exec_lo, exec_lo, s2
	s_delay_alu instid0(VALU_DEP_2) | instskip(SKIP_1) | instid1(VALU_DEP_1)
	v_dual_mov_b32 v10, 0 :: v_dual_bitop2_b32 v11, s21, v7 bitop3:0x54
                                        ; implicit-def: $vgpr8_vgpr9
	s_mov_b32 s2, exec_lo
	v_cmpx_ne_u64_e32 0, v[10:11]
	s_xor_b32 s31, exec_lo, s2
	s_cbranch_execz .LBB1_19
; %bb.18:
	s_fmamk_f32 s2, s30, 0x4f800000, s29
	s_mov_b32 s39, 0
	v_dual_mov_b32 v8, v6 :: v_dual_mov_b32 v9, v10
	s_delay_alu instid0(SALU_CYCLE_1) | instskip(SKIP_2) | instid1(TRANS32_DEP_1)
	v_s_rcp_f32 s2, s2
	v_dual_mov_b32 v12, v7 :: v_dual_mov_b32 v13, v10
	v_dual_mov_b32 v17, v10 :: v_dual_mov_b32 v11, v10
	s_mul_f32 s2, s2, 0x5f7ffffc
	s_delay_alu instid0(SALU_CYCLE_3) | instskip(NEXT) | instid1(SALU_CYCLE_3)
	s_mul_f32 s29, s2, 0x2f800000
	s_trunc_f32 s29, s29
	s_delay_alu instid0(SALU_CYCLE_3) | instskip(SKIP_1) | instid1(SALU_CYCLE_2)
	s_fmamk_f32 s2, s29, 0xcf800000, s2
	s_cvt_u32_f32 s35, s29
	s_cvt_u32_f32 s34, s2
	s_delay_alu instid0(SALU_CYCLE_3) | instskip(NEXT) | instid1(SALU_CYCLE_1)
	s_mul_u64 s[36:37], s[26:27], s[34:35]
	s_mul_hi_u32 s41, s34, s37
	s_mul_i32 s40, s34, s37
	s_mul_hi_u32 s38, s34, s36
	s_mul_i32 s29, s35, s36
	s_add_nc_u64 s[40:41], s[38:39], s[40:41]
	s_mul_hi_u32 s2, s35, s36
	s_mul_hi_u32 s30, s35, s37
	s_add_co_u32 s29, s40, s29
	s_add_co_ci_u32 s38, s41, s2
	s_mul_i32 s36, s35, s37
	s_add_co_ci_u32 s37, s30, 0
	s_delay_alu instid0(SALU_CYCLE_1) | instskip(NEXT) | instid1(SALU_CYCLE_1)
	s_add_nc_u64 s[36:37], s[38:39], s[36:37]
	s_add_co_u32 s34, s34, s36
	s_cselect_b32 s2, -1, 0
	s_delay_alu instid0(SALU_CYCLE_1) | instskip(SKIP_1) | instid1(SALU_CYCLE_1)
	s_cmp_lg_u32 s2, 0
	s_add_co_ci_u32 s35, s35, s37
	s_mul_u64 s[26:27], s[26:27], s[34:35]
	s_delay_alu instid0(SALU_CYCLE_1)
	s_mul_hi_u32 s37, s34, s27
	s_mul_i32 s36, s34, s27
	s_mul_hi_u32 s38, s34, s26
	s_mul_i32 s29, s35, s26
	s_add_nc_u64 s[36:37], s[38:39], s[36:37]
	s_mul_hi_u32 s2, s35, s26
	s_mul_hi_u32 s30, s35, s27
	s_mul_i32 s26, s35, s27
	s_add_co_u32 s27, s36, s29
	s_add_co_ci_u32 s38, s37, s2
	s_add_co_ci_u32 s27, s30, 0
	s_delay_alu instid0(SALU_CYCLE_1) | instskip(NEXT) | instid1(SALU_CYCLE_1)
	s_add_nc_u64 s[26:27], s[38:39], s[26:27]
	s_add_co_u32 s2, s34, s26
	s_cselect_b32 s26, -1, 0
	v_mul_hi_u32 v16, v6, s2
	s_cmp_lg_u32 s26, 0
	s_add_co_ci_u32 s38, s35, s27
	s_mov_b64 s[26:27], 0xffffffff
	v_mul_u64_e32 v[8:9], s[38:39], v[8:9]
	s_and_b64 s[26:27], s[2:3], s[26:27]
	s_delay_alu instid0(SALU_CYCLE_1) | instskip(SKIP_1) | instid1(VALU_DEP_3)
	v_mul_u64_e32 v[14:15], s[26:27], v[12:13]
	v_mul_u64_e32 v[12:13], s[38:39], v[12:13]
	v_add_nc_u64_e32 v[8:9], v[16:17], v[8:9]
	s_delay_alu instid0(VALU_DEP_1) | instskip(NEXT) | instid1(VALU_DEP_2)
	v_add_co_u32 v8, vcc_lo, v8, v14
	v_add_co_ci_u32_e32 v10, vcc_lo, v9, v15, vcc_lo
	s_delay_alu instid0(VALU_DEP_4) | instskip(NEXT) | instid1(VALU_DEP_1)
	v_add_co_ci_u32_e32 v13, vcc_lo, 0, v13, vcc_lo
	v_add_nc_u64_e32 v[8:9], v[10:11], v[12:13]
	s_delay_alu instid0(VALU_DEP_1) | instskip(NEXT) | instid1(VALU_DEP_1)
	v_mul_u64_e32 v[10:11], s[20:21], v[8:9]
	v_sub_nc_u32_e32 v12, v7, v11
	s_delay_alu instid0(VALU_DEP_2) | instskip(NEXT) | instid1(VALU_DEP_1)
	v_sub_co_u32 v6, vcc_lo, v6, v10
	v_sub_co_ci_u32_e64 v11, null, v7, v11, vcc_lo
	s_delay_alu instid0(VALU_DEP_3) | instskip(NEXT) | instid1(VALU_DEP_3)
	v_subrev_co_ci_u32_e64 v10, null, s21, v12, vcc_lo
	v_sub_co_u32 v14, s2, v6, s20
	v_cmp_le_u32_e32 vcc_lo, s20, v6
	s_delay_alu instid0(VALU_DEP_3) | instskip(NEXT) | instid1(VALU_DEP_3)
	v_subrev_co_ci_u32_e64 v10, null, 0, v10, s2
	v_cmp_le_u32_e64 s2, s20, v14
	v_add_nc_u64_e32 v[12:13], 2, v[8:9]
	v_cndmask_b32_e64 v16, 0, -1, vcc_lo
	s_delay_alu instid0(VALU_DEP_4) | instskip(SKIP_3) | instid1(VALU_DEP_1)
	v_cmp_eq_u32_e32 vcc_lo, s21, v10
	v_add_nc_u64_e32 v[6:7], 1, v[8:9]
	v_cndmask_b32_e64 v14, 0, -1, s2
	v_cmp_le_u32_e64 s2, s21, v10
	v_cndmask_b32_e64 v15, 0, -1, s2
	v_cmp_eq_u32_e64 s2, s21, v11
	s_delay_alu instid0(VALU_DEP_2) | instskip(SKIP_2) | instid1(VALU_DEP_3)
	v_cndmask_b32_e32 v10, v15, v14, vcc_lo
	v_cmp_le_u32_e32 vcc_lo, s21, v11
	v_cndmask_b32_e64 v14, 0, -1, vcc_lo
	v_cmp_ne_u32_e32 vcc_lo, 0, v10
	s_delay_alu instid0(VALU_DEP_2) | instskip(SKIP_1) | instid1(VALU_DEP_2)
	v_cndmask_b32_e64 v10, v14, v16, s2
	v_dual_cndmask_b32 v6, v6, v12 :: v_dual_cndmask_b32 v7, v7, v13
                                        ; implicit-def: $vgpr12
	v_cmp_ne_u32_e32 vcc_lo, 0, v10
	s_delay_alu instid0(VALU_DEP_2)
	v_dual_cndmask_b32 v8, v8, v6 :: v_dual_cndmask_b32 v9, v9, v7
                                        ; implicit-def: $vgpr6_vgpr7
.LBB1_19:
	s_and_not1_saveexec_b32 s2, s31
	s_cbranch_execz .LBB1_21
; %bb.20:
	v_rcp_iflag_f32_e32 v7, v12
	s_sub_co_i32 s26, 0, s20
	v_nop
	s_delay_alu instid0(TRANS32_DEP_1) | instskip(NEXT) | instid1(VALU_DEP_1)
	v_mul_f32_e32 v7, 0x4f7ffffe, v7
	v_cvt_u32_f32_e32 v7, v7
	s_delay_alu instid0(VALU_DEP_1) | instskip(NEXT) | instid1(VALU_DEP_1)
	v_mul_lo_u32 v8, s26, v7
	v_mul_hi_u32 v8, v7, v8
	s_delay_alu instid0(VALU_DEP_1) | instskip(NEXT) | instid1(VALU_DEP_1)
	v_add_nc_u32_e32 v7, v7, v8
	v_mul_hi_u32 v7, v6, v7
	s_delay_alu instid0(VALU_DEP_1) | instskip(NEXT) | instid1(VALU_DEP_1)
	v_mul_lo_u32 v8, v7, s20
	v_dual_sub_nc_u32 v6, v6, v8 :: v_dual_add_nc_u32 v8, 1, v7
	s_delay_alu instid0(VALU_DEP_1) | instskip(SKIP_1) | instid1(VALU_DEP_2)
	v_subrev_nc_u32_e32 v9, s20, v6
	v_cmp_le_u32_e32 vcc_lo, s20, v6
	v_dual_cndmask_b32 v6, v6, v9 :: v_dual_mov_b32 v9, 0
	s_delay_alu instid0(VALU_DEP_4) | instskip(NEXT) | instid1(VALU_DEP_2)
	v_cndmask_b32_e32 v7, v7, v8, vcc_lo
	v_cmp_le_u32_e32 vcc_lo, s20, v6
	s_delay_alu instid0(VALU_DEP_2) | instskip(NEXT) | instid1(VALU_DEP_1)
	v_add_nc_u32_e32 v8, 1, v7
	v_cndmask_b32_e32 v8, v7, v8, vcc_lo
.LBB1_21:
	s_or_b32 exec_lo, exec_lo, s2
	s_delay_alu instid0(VALU_DEP_1) | instskip(SKIP_1) | instid1(VALU_DEP_1)
	v_dual_mov_b32 v10, 0 :: v_dual_bitop2_b32 v11, s17, v9 bitop3:0x54
                                        ; implicit-def: $vgpr6_vgpr7
	s_mov_b32 s2, exec_lo
	v_cmpx_ne_u64_e32 0, v[10:11]
	s_xor_b32 s26, exec_lo, s2
	s_cbranch_execz .LBB1_23
; %bb.22:
	s_cvt_f32_u32 s2, s16
	s_cvt_f32_u32 s27, s17
	s_sub_nc_u64 s[34:35], 0, s[16:17]
	s_mov_b32 s39, 0
	v_dual_mov_b32 v6, v8 :: v_dual_mov_b32 v7, v10
	s_fmamk_f32 s2, s27, 0x4f800000, s2
	v_dual_mov_b32 v12, v9 :: v_dual_mov_b32 v13, v10
	v_dual_mov_b32 v17, v10 :: v_dual_mov_b32 v11, v10
	s_delay_alu instid0(SALU_CYCLE_1) | instskip(NEXT) | instid1(TRANS32_DEP_1)
	v_s_rcp_f32 s2, s2
	s_mul_f32 s2, s2, 0x5f7ffffc
	s_delay_alu instid0(SALU_CYCLE_3) | instskip(NEXT) | instid1(SALU_CYCLE_3)
	s_mul_f32 s27, s2, 0x2f800000
	s_trunc_f32 s27, s27
	s_delay_alu instid0(SALU_CYCLE_3) | instskip(SKIP_1) | instid1(SALU_CYCLE_2)
	s_fmamk_f32 s2, s27, 0xcf800000, s2
	s_cvt_u32_f32 s31, s27
	s_cvt_u32_f32 s30, s2
	s_delay_alu instid0(SALU_CYCLE_3) | instskip(NEXT) | instid1(SALU_CYCLE_1)
	s_mul_u64 s[36:37], s[34:35], s[30:31]
	s_mul_hi_u32 s41, s30, s37
	s_mul_i32 s40, s30, s37
	s_mul_hi_u32 s38, s30, s36
	s_mul_i32 s27, s31, s36
	s_add_nc_u64 s[40:41], s[38:39], s[40:41]
	s_mul_hi_u32 s2, s31, s36
	s_mul_hi_u32 s29, s31, s37
	s_add_co_u32 s27, s40, s27
	s_add_co_ci_u32 s38, s41, s2
	s_mul_i32 s36, s31, s37
	s_add_co_ci_u32 s37, s29, 0
	s_delay_alu instid0(SALU_CYCLE_1) | instskip(NEXT) | instid1(SALU_CYCLE_1)
	s_add_nc_u64 s[36:37], s[38:39], s[36:37]
	s_add_co_u32 s30, s30, s36
	s_cselect_b32 s2, -1, 0
	s_delay_alu instid0(SALU_CYCLE_1) | instskip(SKIP_1) | instid1(SALU_CYCLE_1)
	s_cmp_lg_u32 s2, 0
	s_add_co_ci_u32 s31, s31, s37
	s_mul_u64 s[34:35], s[34:35], s[30:31]
	s_delay_alu instid0(SALU_CYCLE_1)
	s_mul_hi_u32 s37, s30, s35
	s_mul_i32 s36, s30, s35
	s_mul_hi_u32 s38, s30, s34
	s_mul_i32 s27, s31, s34
	s_add_nc_u64 s[36:37], s[38:39], s[36:37]
	s_mul_hi_u32 s2, s31, s34
	s_mul_hi_u32 s29, s31, s35
	s_add_co_u32 s27, s36, s27
	s_add_co_ci_u32 s38, s37, s2
	s_mul_i32 s34, s31, s35
	s_add_co_ci_u32 s35, s29, 0
	s_delay_alu instid0(SALU_CYCLE_1) | instskip(NEXT) | instid1(SALU_CYCLE_1)
	s_add_nc_u64 s[34:35], s[38:39], s[34:35]
	s_add_co_u32 s2, s30, s34
	s_cselect_b32 s27, -1, 0
	v_nop
	v_mul_hi_u32 v16, v8, s2
	s_cmp_lg_u32 s27, 0
	s_add_co_ci_u32 s38, s31, s35
	s_mov_b64 s[30:31], 0xffffffff
	v_mul_u64_e32 v[6:7], s[38:39], v[6:7]
	s_and_b64 s[30:31], s[2:3], s[30:31]
	s_delay_alu instid0(SALU_CYCLE_1) | instskip(SKIP_1) | instid1(VALU_DEP_3)
	v_mul_u64_e32 v[14:15], s[30:31], v[12:13]
	v_mul_u64_e32 v[12:13], s[38:39], v[12:13]
	v_add_nc_u64_e32 v[6:7], v[16:17], v[6:7]
	s_delay_alu instid0(VALU_DEP_1) | instskip(NEXT) | instid1(VALU_DEP_2)
	v_add_co_u32 v6, vcc_lo, v6, v14
	v_add_co_ci_u32_e32 v10, vcc_lo, v7, v15, vcc_lo
	s_delay_alu instid0(VALU_DEP_4) | instskip(NEXT) | instid1(VALU_DEP_1)
	v_add_co_ci_u32_e32 v13, vcc_lo, 0, v13, vcc_lo
	v_add_nc_u64_e32 v[6:7], v[10:11], v[12:13]
	s_delay_alu instid0(VALU_DEP_1) | instskip(NEXT) | instid1(VALU_DEP_1)
	v_mul_u64_e32 v[6:7], s[16:17], v[6:7]
	v_sub_nc_u32_e32 v10, v9, v7
	s_delay_alu instid0(VALU_DEP_2) | instskip(NEXT) | instid1(VALU_DEP_1)
	v_sub_co_u32 v6, vcc_lo, v8, v6
	v_sub_co_ci_u32_e64 v7, null, v9, v7, vcc_lo
	s_delay_alu instid0(VALU_DEP_3) | instskip(NEXT) | instid1(VALU_DEP_3)
	v_subrev_co_ci_u32_e64 v8, null, s17, v10, vcc_lo
	v_sub_co_u32 v9, vcc_lo, v6, s16
	v_cmp_le_u32_e64 s2, s16, v6
	s_delay_alu instid0(VALU_DEP_3) | instskip(SKIP_1) | instid1(VALU_DEP_3)
	v_subrev_co_ci_u32_e64 v10, null, 0, v8, vcc_lo
	v_subrev_co_ci_u32_e64 v8, null, s17, v8, vcc_lo
	v_cndmask_b32_e64 v11, 0, -1, s2
	v_cmp_le_u32_e64 s2, s16, v9
	v_cmp_le_u32_e32 vcc_lo, s17, v7
	s_delay_alu instid0(VALU_DEP_2) | instskip(SKIP_3) | instid1(VALU_DEP_3)
	v_cndmask_b32_e64 v12, 0, -1, s2
	v_cmp_le_u32_e64 s2, s17, v10
	v_cndmask_b32_e64 v14, 0, -1, vcc_lo
	v_cmp_eq_u32_e32 vcc_lo, s17, v10
	v_cndmask_b32_e64 v13, 0, -1, s2
	s_delay_alu instid0(VALU_DEP_1) | instskip(SKIP_1) | instid1(VALU_DEP_1)
	v_cndmask_b32_e32 v10, v13, v12, vcc_lo
	v_sub_co_u32 v12, vcc_lo, v9, s16
	v_subrev_co_ci_u32_e64 v8, null, 0, v8, vcc_lo
	v_cmp_eq_u32_e32 vcc_lo, s17, v7
	v_cndmask_b32_e32 v7, v14, v11, vcc_lo
	v_cmp_ne_u32_e32 vcc_lo, 0, v10
	v_cndmask_b32_e32 v8, v9, v12, vcc_lo
	s_delay_alu instid0(VALU_DEP_3) | instskip(NEXT) | instid1(VALU_DEP_2)
	v_cmp_ne_u32_e32 vcc_lo, 0, v7
	v_cndmask_b32_e32 v6, v6, v8, vcc_lo
                                        ; implicit-def: $vgpr8_vgpr9
.LBB1_23:
	s_and_not1_saveexec_b32 s2, s26
	s_cbranch_execz .LBB1_25
; %bb.24:
	v_cvt_f32_u32_e32 v6, s16
	s_sub_co_i32 s26, 0, s16
	s_delay_alu instid0(VALU_DEP_1) | instskip(SKIP_1) | instid1(TRANS32_DEP_1)
	v_rcp_iflag_f32_e32 v6, v6
	v_nop
	v_mul_f32_e32 v6, 0x4f7ffffe, v6
	s_delay_alu instid0(VALU_DEP_1) | instskip(NEXT) | instid1(VALU_DEP_1)
	v_cvt_u32_f32_e32 v6, v6
	v_mul_lo_u32 v7, s26, v6
	s_delay_alu instid0(VALU_DEP_1) | instskip(NEXT) | instid1(VALU_DEP_1)
	v_mul_hi_u32 v7, v6, v7
	v_add_nc_u32_e32 v6, v6, v7
	s_delay_alu instid0(VALU_DEP_1) | instskip(NEXT) | instid1(VALU_DEP_1)
	v_mul_hi_u32 v6, v8, v6
	v_mul_lo_u32 v6, v6, s16
	s_delay_alu instid0(VALU_DEP_1) | instskip(NEXT) | instid1(VALU_DEP_1)
	v_sub_nc_u32_e32 v6, v8, v6
	v_subrev_nc_u32_e32 v7, s16, v6
	v_cmp_le_u32_e32 vcc_lo, s16, v6
	s_delay_alu instid0(VALU_DEP_2) | instskip(NEXT) | instid1(VALU_DEP_1)
	v_cndmask_b32_e32 v6, v6, v7, vcc_lo
	v_subrev_nc_u32_e32 v7, s16, v6
	v_cmp_le_u32_e32 vcc_lo, s16, v6
	s_delay_alu instid0(VALU_DEP_2)
	v_cndmask_b32_e32 v6, v6, v7, vcc_lo
.LBB1_25:
	s_or_b32 exec_lo, exec_lo, s2
	v_dual_mov_b32 v8, 0 :: v_dual_bitop2_b32 v9, s19, v5 bitop3:0x54
                                        ; implicit-def: $vgpr10_vgpr11
	s_mov_b32 s2, exec_lo
	s_delay_alu instid0(VALU_DEP_1)
	v_cmpx_ne_u64_e32 0, v[8:9]
	s_xor_b32 s26, exec_lo, s2
	s_cbranch_execz .LBB1_27
; %bb.26:
	s_fmamk_f32 s2, s28, 0x4f800000, s3
	s_mov_b32 s31, 0
	v_dual_mov_b32 v10, v4 :: v_dual_mov_b32 v11, v8
	s_delay_alu instid0(SALU_CYCLE_1) | instskip(SKIP_2) | instid1(TRANS32_DEP_1)
	v_s_rcp_f32 s2, s2
	v_dual_mov_b32 v12, v5 :: v_dual_mov_b32 v13, v8
	v_dual_mov_b32 v17, v8 :: v_dual_mov_b32 v9, v8
	s_mul_f32 s2, s2, 0x5f7ffffc
	s_delay_alu instid0(SALU_CYCLE_3) | instskip(NEXT) | instid1(SALU_CYCLE_3)
	s_mul_f32 s3, s2, 0x2f800000
	s_trunc_f32 s3, s3
	s_delay_alu instid0(SALU_CYCLE_3) | instskip(SKIP_1) | instid1(SALU_CYCLE_2)
	s_fmamk_f32 s2, s3, 0xcf800000, s2
	s_cvt_u32_f32 s3, s3
	s_cvt_u32_f32 s2, s2
	s_delay_alu instid0(SALU_CYCLE_3) | instskip(NEXT) | instid1(SALU_CYCLE_1)
	s_mul_u64 s[28:29], s[24:25], s[2:3]
	s_mul_hi_u32 s35, s2, s29
	s_mul_i32 s34, s2, s29
	s_mul_hi_u32 s30, s2, s28
	s_mul_i32 s33, s3, s28
	s_add_nc_u64 s[34:35], s[30:31], s[34:35]
	s_mul_hi_u32 s27, s3, s28
	s_mul_hi_u32 s36, s3, s29
	s_mul_i32 s28, s3, s29
	s_add_co_u32 s29, s34, s33
	s_add_co_ci_u32 s30, s35, s27
	s_add_co_ci_u32 s29, s36, 0
	s_delay_alu instid0(SALU_CYCLE_1) | instskip(NEXT) | instid1(SALU_CYCLE_1)
	s_add_nc_u64 s[28:29], s[30:31], s[28:29]
	s_add_co_u32 s2, s2, s28
	s_cselect_b32 s27, -1, 0
	s_delay_alu instid0(SALU_CYCLE_1) | instskip(SKIP_1) | instid1(SALU_CYCLE_1)
	s_cmp_lg_u32 s27, 0
	s_add_co_ci_u32 s3, s3, s29
	s_mul_u64 s[24:25], s[24:25], s[2:3]
	s_delay_alu instid0(SALU_CYCLE_1)
	s_mul_hi_u32 s29, s2, s25
	s_mul_i32 s28, s2, s25
	s_mul_hi_u32 s30, s2, s24
	s_mul_i32 s33, s3, s24
	s_add_nc_u64 s[28:29], s[30:31], s[28:29]
	s_mul_hi_u32 s27, s3, s24
	s_mul_hi_u32 s34, s3, s25
	s_mul_i32 s24, s3, s25
	s_add_co_u32 s25, s28, s33
	s_add_co_ci_u32 s30, s29, s27
	s_add_co_ci_u32 s25, s34, 0
	s_delay_alu instid0(SALU_CYCLE_1) | instskip(NEXT) | instid1(SALU_CYCLE_1)
	s_add_nc_u64 s[24:25], s[30:31], s[24:25]
	s_add_co_u32 s2, s2, s24
	s_cselect_b32 s24, -1, 0
	v_mul_hi_u32 v16, v4, s2
	s_cmp_lg_u32 s24, 0
	s_add_co_ci_u32 s30, s3, s25
	s_mov_b64 s[24:25], 0xffffffff
	v_mul_u64_e32 v[10:11], s[30:31], v[10:11]
	s_and_b64 s[24:25], s[2:3], s[24:25]
	s_delay_alu instid0(SALU_CYCLE_1) | instskip(SKIP_1) | instid1(VALU_DEP_3)
	v_mul_u64_e32 v[14:15], s[24:25], v[12:13]
	v_mul_u64_e32 v[12:13], s[30:31], v[12:13]
	v_add_nc_u64_e32 v[10:11], v[16:17], v[10:11]
	s_delay_alu instid0(VALU_DEP_1) | instskip(NEXT) | instid1(VALU_DEP_2)
	v_add_co_u32 v3, vcc_lo, v10, v14
	v_add_co_ci_u32_e32 v8, vcc_lo, v11, v15, vcc_lo
	s_delay_alu instid0(VALU_DEP_4) | instskip(NEXT) | instid1(VALU_DEP_1)
	v_add_co_ci_u32_e32 v13, vcc_lo, 0, v13, vcc_lo
	v_add_nc_u64_e32 v[8:9], v[8:9], v[12:13]
	s_delay_alu instid0(VALU_DEP_1) | instskip(NEXT) | instid1(VALU_DEP_1)
	v_mul_u64_e32 v[8:9], s[18:19], v[8:9]
	v_sub_nc_u32_e32 v3, v5, v9
	s_delay_alu instid0(VALU_DEP_2) | instskip(NEXT) | instid1(VALU_DEP_1)
	v_sub_co_u32 v7, vcc_lo, v4, v8
	v_sub_co_ci_u32_e64 v5, null, v5, v9, vcc_lo
	s_delay_alu instid0(VALU_DEP_3) | instskip(NEXT) | instid1(VALU_DEP_3)
	v_subrev_co_ci_u32_e64 v3, null, s19, v3, vcc_lo
	v_sub_co_u32 v8, vcc_lo, v7, s18
	v_cmp_le_u32_e64 s2, s18, v7
	s_delay_alu instid0(VALU_DEP_3) | instskip(SKIP_1) | instid1(VALU_DEP_3)
	v_subrev_co_ci_u32_e64 v9, null, 0, v3, vcc_lo
	v_subrev_co_ci_u32_e64 v3, null, s19, v3, vcc_lo
	v_cndmask_b32_e64 v10, 0, -1, s2
	v_cmp_le_u32_e64 s2, s18, v8
	v_cmp_le_u32_e32 vcc_lo, s19, v5
	s_delay_alu instid0(VALU_DEP_2) | instskip(SKIP_3) | instid1(VALU_DEP_3)
	v_cndmask_b32_e64 v11, 0, -1, s2
	v_cmp_le_u32_e64 s2, s19, v9
	v_cndmask_b32_e64 v13, 0, -1, vcc_lo
	v_cmp_eq_u32_e32 vcc_lo, s19, v9
	v_cndmask_b32_e64 v12, 0, -1, s2
	s_delay_alu instid0(VALU_DEP_1) | instskip(SKIP_1) | instid1(VALU_DEP_1)
	v_cndmask_b32_e32 v9, v12, v11, vcc_lo
	v_sub_co_u32 v11, vcc_lo, v8, s18
	v_subrev_co_ci_u32_e64 v3, null, 0, v3, vcc_lo
	v_cmp_eq_u32_e32 vcc_lo, s19, v5
	v_cndmask_b32_e32 v3, v13, v10, vcc_lo
	v_cmp_ne_u32_e32 vcc_lo, 0, v9
	v_cndmask_b32_e32 v5, v8, v11, vcc_lo
	s_delay_alu instid0(VALU_DEP_3) | instskip(NEXT) | instid1(VALU_DEP_2)
	v_cmp_ne_u32_e32 vcc_lo, 0, v3
                                        ; implicit-def: $vgpr3
	v_cndmask_b32_e32 v10, v7, v5, vcc_lo
.LBB1_27:
	s_and_not1_saveexec_b32 s2, s26
	s_cbranch_execz .LBB1_29
; %bb.28:
	v_rcp_iflag_f32_e32 v3, v3
	s_sub_co_i32 s3, 0, s18
	v_nop
	s_delay_alu instid0(TRANS32_DEP_1) | instskip(NEXT) | instid1(VALU_DEP_1)
	v_mul_f32_e32 v3, 0x4f7ffffe, v3
	v_cvt_u32_f32_e32 v3, v3
	s_delay_alu instid0(VALU_DEP_1) | instskip(NEXT) | instid1(VALU_DEP_1)
	v_mul_lo_u32 v5, s3, v3
	v_mul_hi_u32 v5, v3, v5
	s_delay_alu instid0(VALU_DEP_1) | instskip(NEXT) | instid1(VALU_DEP_1)
	v_add_nc_u32_e32 v3, v3, v5
	v_mul_hi_u32 v3, v4, v3
	s_delay_alu instid0(VALU_DEP_1) | instskip(NEXT) | instid1(VALU_DEP_1)
	v_mul_lo_u32 v3, v3, s18
	v_sub_nc_u32_e32 v3, v4, v3
	s_delay_alu instid0(VALU_DEP_1) | instskip(SKIP_1) | instid1(VALU_DEP_2)
	v_subrev_nc_u32_e32 v5, s18, v3
	v_cmp_le_u32_e32 vcc_lo, s18, v3
	v_cndmask_b32_e32 v3, v3, v5, vcc_lo
	s_delay_alu instid0(VALU_DEP_1) | instskip(SKIP_1) | instid1(VALU_DEP_2)
	v_subrev_nc_u32_e32 v5, s18, v3
	v_cmp_le_u32_e32 vcc_lo, s18, v3
	v_cndmask_b32_e32 v10, v3, v5, vcc_lo
.LBB1_29:
	s_or_b32 exec_lo, exec_lo, s2
	s_load_b96 s[0:2], s[0:1], 0x50
	v_mul_lo_u32 v3, v4, s20
	s_delay_alu instid0(VALU_DEP_2) | instskip(SKIP_1) | instid1(VALU_DEP_3)
	v_cvt_f32_i32_e32 v4, v10
	v_cvt_f32_i32_e32 v5, v6
	v_sub_nc_u32_e32 v3, v0, v3
	v_lshl_add_u64 v[0:1], v[0:1], 2, s[22:23]
	s_wait_kmcnt 0x0
	v_mul_f32_e32 v6, s1, v4
	s_delay_alu instid0(VALU_DEP_3) | instskip(SKIP_2) | instid1(SALU_CYCLE_1)
	v_cvt_f32_i32_e32 v3, v3
	v_mul_f32_e32 v5, s0, v5
	s_mul_u64 s[0:1], s[14:15], s[12:13]
	s_mul_u64 s[0:1], s[0:1], s[10:11]
	s_delay_alu instid0(VALU_DEP_2) | instskip(SKIP_1) | instid1(SALU_CYCLE_1)
	v_mul_f32_e32 v3, s2, v3
	s_mul_u64 s[2:3], s[20:21], s[18:19]
	s_mul_u64 s[2:3], s[2:3], s[16:17]
	s_delay_alu instid0(VALU_DEP_1) | instskip(SKIP_1) | instid1(SALU_CYCLE_1)
	v_floor_f32_e32 v3, v3
	s_mul_u64 s[2:3], s[2:3], s[8:9]
	s_lshl_b64 s[2:3], s[2:3], 2
	s_delay_alu instid0(VALU_DEP_1) | instskip(NEXT) | instid1(VALU_DEP_1)
	v_cvt_i32_f32_e32 v3, v3
	v_add_min_i32_e64 v4, s14, -1, v3
	v_floor_f32_e32 v3, v6
	v_floor_f32_e32 v6, v5
	s_delay_alu instid0(VALU_DEP_2) | instskip(NEXT) | instid1(VALU_DEP_2)
	v_cvt_i32_f32_e32 v3, v3
	v_cvt_i32_f32_e32 v7, v6
	s_delay_alu instid0(VALU_DEP_2) | instskip(SKIP_1) | instid1(VALU_DEP_3)
	v_add_min_i32_e64 v6, s12, -1, v3
	v_ashrrev_i32_e32 v5, 31, v4
	v_add_min_i32_e64 v3, s10, -1, v7
	v_ashrrev_i32_e32 v8, 31, v2
	s_delay_alu instid0(VALU_DEP_4) | instskip(NEXT) | instid1(VALU_DEP_4)
	v_ashrrev_i32_e32 v7, 31, v6
	v_mad_nc_u64_u32 v[4:5], v2, s0, v[4:5]
	s_delay_alu instid0(VALU_DEP_2) | instskip(NEXT) | instid1(VALU_DEP_2)
	v_mad_nc_u64_u32 v[6:7], s12, v3, v[6:7]
	v_mad_u32 v5, v8, s0, v5
	s_delay_alu instid0(VALU_DEP_2) | instskip(NEXT) | instid1(VALU_DEP_2)
	v_mad_u32 v7, s13, v3, v7
	v_mad_u32 v5, v2, s1, v5
	v_ashrrev_i32_e32 v2, 31, v3
	s_mul_u64 s[0:1], s[0:1], s[8:9]
	s_mov_b64 s[8:9], 0
	s_delay_alu instid0(VALU_DEP_1) | instskip(NEXT) | instid1(VALU_DEP_3)
	v_mad_u32 v7, s12, v2, v7
	v_mad_nc_u64_u32 v[2:3], v6, s14, v[4:5]
	s_delay_alu instid0(VALU_DEP_1) | instskip(NEXT) | instid1(VALU_DEP_1)
	v_mad_u32 v3, v7, s14, v3
	v_mad_u32 v3, v6, s15, v3
.LBB1_30:                               ; =>This Inner Loop Header: Depth=1
	s_delay_alu instid0(VALU_DEP_1)
	v_lshl_add_u64 v[4:5], v[2:3], 2, s[4:5]
	s_add_nc_u64 s[8:9], s[8:9], 1
	v_add_nc_u64_e32 v[2:3], s[0:1], v[2:3]
	v_cmp_gt_u64_e64 s10, s[6:7], s[8:9]
	global_load_b32 v4, v[4:5], off
	s_and_b32 vcc_lo, exec_lo, s10
	s_wait_loadcnt 0x0
	global_store_b32 v[0:1], v4, off
	s_wait_xcnt 0x0
	v_add_nc_u64_e32 v[0:1], s[2:3], v[0:1]
	s_cbranch_vccnz .LBB1_30
.LBB1_31:
	s_endpgm
	.section	.rodata,"a",@progbits
	.p2align	6, 0x0
	.amdhsa_kernel _ZN2at6native12_GLOBAL__N_128upsample_nearest3d_out_frameIfXadL_ZNS0_37nearest_neighbor_compute_source_indexEfiiEEEEvPKT_mmmmmmmmPS3_fff
		.amdhsa_group_segment_fixed_size 0
		.amdhsa_private_segment_fixed_size 0
		.amdhsa_kernarg_size 352
		.amdhsa_user_sgpr_count 2
		.amdhsa_user_sgpr_dispatch_ptr 0
		.amdhsa_user_sgpr_queue_ptr 0
		.amdhsa_user_sgpr_kernarg_segment_ptr 1
		.amdhsa_user_sgpr_dispatch_id 0
		.amdhsa_user_sgpr_kernarg_preload_length 0
		.amdhsa_user_sgpr_kernarg_preload_offset 0
		.amdhsa_user_sgpr_private_segment_size 0
		.amdhsa_wavefront_size32 1
		.amdhsa_uses_dynamic_stack 0
		.amdhsa_enable_private_segment 0
		.amdhsa_system_sgpr_workgroup_id_x 1
		.amdhsa_system_sgpr_workgroup_id_y 0
		.amdhsa_system_sgpr_workgroup_id_z 0
		.amdhsa_system_sgpr_workgroup_info 0
		.amdhsa_system_vgpr_workitem_id 0
		.amdhsa_next_free_vgpr 18
		.amdhsa_next_free_sgpr 43
		.amdhsa_named_barrier_count 0
		.amdhsa_reserve_vcc 1
		.amdhsa_float_round_mode_32 0
		.amdhsa_float_round_mode_16_64 0
		.amdhsa_float_denorm_mode_32 3
		.amdhsa_float_denorm_mode_16_64 3
		.amdhsa_fp16_overflow 0
		.amdhsa_memory_ordered 1
		.amdhsa_forward_progress 1
		.amdhsa_inst_pref_size 43
		.amdhsa_round_robin_scheduling 0
		.amdhsa_exception_fp_ieee_invalid_op 0
		.amdhsa_exception_fp_denorm_src 0
		.amdhsa_exception_fp_ieee_div_zero 0
		.amdhsa_exception_fp_ieee_overflow 0
		.amdhsa_exception_fp_ieee_underflow 0
		.amdhsa_exception_fp_ieee_inexact 0
		.amdhsa_exception_int_div_zero 0
	.end_amdhsa_kernel
	.section	.text._ZN2at6native12_GLOBAL__N_128upsample_nearest3d_out_frameIfXadL_ZNS0_37nearest_neighbor_compute_source_indexEfiiEEEEvPKT_mmmmmmmmPS3_fff,"axG",@progbits,_ZN2at6native12_GLOBAL__N_128upsample_nearest3d_out_frameIfXadL_ZNS0_37nearest_neighbor_compute_source_indexEfiiEEEEvPKT_mmmmmmmmPS3_fff,comdat
.Lfunc_end1:
	.size	_ZN2at6native12_GLOBAL__N_128upsample_nearest3d_out_frameIfXadL_ZNS0_37nearest_neighbor_compute_source_indexEfiiEEEEvPKT_mmmmmmmmPS3_fff, .Lfunc_end1-_ZN2at6native12_GLOBAL__N_128upsample_nearest3d_out_frameIfXadL_ZNS0_37nearest_neighbor_compute_source_indexEfiiEEEEvPKT_mmmmmmmmPS3_fff
                                        ; -- End function
	.set _ZN2at6native12_GLOBAL__N_128upsample_nearest3d_out_frameIfXadL_ZNS0_37nearest_neighbor_compute_source_indexEfiiEEEEvPKT_mmmmmmmmPS3_fff.num_vgpr, 18
	.set _ZN2at6native12_GLOBAL__N_128upsample_nearest3d_out_frameIfXadL_ZNS0_37nearest_neighbor_compute_source_indexEfiiEEEEvPKT_mmmmmmmmPS3_fff.num_agpr, 0
	.set _ZN2at6native12_GLOBAL__N_128upsample_nearest3d_out_frameIfXadL_ZNS0_37nearest_neighbor_compute_source_indexEfiiEEEEvPKT_mmmmmmmmPS3_fff.numbered_sgpr, 43
	.set _ZN2at6native12_GLOBAL__N_128upsample_nearest3d_out_frameIfXadL_ZNS0_37nearest_neighbor_compute_source_indexEfiiEEEEvPKT_mmmmmmmmPS3_fff.num_named_barrier, 0
	.set _ZN2at6native12_GLOBAL__N_128upsample_nearest3d_out_frameIfXadL_ZNS0_37nearest_neighbor_compute_source_indexEfiiEEEEvPKT_mmmmmmmmPS3_fff.private_seg_size, 0
	.set _ZN2at6native12_GLOBAL__N_128upsample_nearest3d_out_frameIfXadL_ZNS0_37nearest_neighbor_compute_source_indexEfiiEEEEvPKT_mmmmmmmmPS3_fff.uses_vcc, 1
	.set _ZN2at6native12_GLOBAL__N_128upsample_nearest3d_out_frameIfXadL_ZNS0_37nearest_neighbor_compute_source_indexEfiiEEEEvPKT_mmmmmmmmPS3_fff.uses_flat_scratch, 0
	.set _ZN2at6native12_GLOBAL__N_128upsample_nearest3d_out_frameIfXadL_ZNS0_37nearest_neighbor_compute_source_indexEfiiEEEEvPKT_mmmmmmmmPS3_fff.has_dyn_sized_stack, 0
	.set _ZN2at6native12_GLOBAL__N_128upsample_nearest3d_out_frameIfXadL_ZNS0_37nearest_neighbor_compute_source_indexEfiiEEEEvPKT_mmmmmmmmPS3_fff.has_recursion, 0
	.set _ZN2at6native12_GLOBAL__N_128upsample_nearest3d_out_frameIfXadL_ZNS0_37nearest_neighbor_compute_source_indexEfiiEEEEvPKT_mmmmmmmmPS3_fff.has_indirect_call, 0
	.section	.AMDGPU.csdata,"",@progbits
; Kernel info:
; codeLenInByte = 5392
; TotalNumSgprs: 45
; NumVgprs: 18
; ScratchSize: 0
; MemoryBound: 0
; FloatMode: 240
; IeeeMode: 1
; LDSByteSize: 0 bytes/workgroup (compile time only)
; SGPRBlocks: 0
; VGPRBlocks: 1
; NumSGPRsForWavesPerEU: 45
; NumVGPRsForWavesPerEU: 18
; NamedBarCnt: 0
; Occupancy: 16
; WaveLimiterHint : 0
; COMPUTE_PGM_RSRC2:SCRATCH_EN: 0
; COMPUTE_PGM_RSRC2:USER_SGPR: 2
; COMPUTE_PGM_RSRC2:TRAP_HANDLER: 0
; COMPUTE_PGM_RSRC2:TGID_X_EN: 1
; COMPUTE_PGM_RSRC2:TGID_Y_EN: 0
; COMPUTE_PGM_RSRC2:TGID_Z_EN: 0
; COMPUTE_PGM_RSRC2:TIDIG_COMP_CNT: 0
	.section	.text._ZN2at6native12_GLOBAL__N_128upsample_nearest3d_out_frameIN3c104HalfEXadL_ZNS0_37nearest_neighbor_compute_source_indexEfiiEEEEvPKT_mmmmmmmmPS5_fff,"axG",@progbits,_ZN2at6native12_GLOBAL__N_128upsample_nearest3d_out_frameIN3c104HalfEXadL_ZNS0_37nearest_neighbor_compute_source_indexEfiiEEEEvPKT_mmmmmmmmPS5_fff,comdat
	.globl	_ZN2at6native12_GLOBAL__N_128upsample_nearest3d_out_frameIN3c104HalfEXadL_ZNS0_37nearest_neighbor_compute_source_indexEfiiEEEEvPKT_mmmmmmmmPS5_fff ; -- Begin function _ZN2at6native12_GLOBAL__N_128upsample_nearest3d_out_frameIN3c104HalfEXadL_ZNS0_37nearest_neighbor_compute_source_indexEfiiEEEEvPKT_mmmmmmmmPS5_fff
	.p2align	8
	.type	_ZN2at6native12_GLOBAL__N_128upsample_nearest3d_out_frameIN3c104HalfEXadL_ZNS0_37nearest_neighbor_compute_source_indexEfiiEEEEvPKT_mmmmmmmmPS5_fff,@function
_ZN2at6native12_GLOBAL__N_128upsample_nearest3d_out_frameIN3c104HalfEXadL_ZNS0_37nearest_neighbor_compute_source_indexEfiiEEEEvPKT_mmmmmmmmPS5_fff: ; @_ZN2at6native12_GLOBAL__N_128upsample_nearest3d_out_frameIN3c104HalfEXadL_ZNS0_37nearest_neighbor_compute_source_indexEfiiEEEEvPKT_mmmmmmmmPS5_fff
; %bb.0:
	s_clause 0x2
	s_load_b32 s2, s[0:1], 0x6c
	s_load_b512 s[4:19], s[0:1], 0x0
	s_load_b128 s[20:23], s[0:1], 0x40
	s_bfe_u32 s3, ttmp6, 0x4000c
	v_mov_b32_e32 v2, 0
	s_add_co_i32 s3, s3, 1
	s_and_b32 s24, ttmp6, 15
	s_mul_i32 s3, ttmp9, s3
	s_getreg_b32 s25, hwreg(HW_REG_IB_STS2, 6, 4)
	v_mov_b32_e32 v1, v2
	s_add_co_i32 s24, s24, s3
	s_wait_kmcnt 0x0
	s_and_b32 s2, s2, 0xffff
	s_cmp_eq_u32 s25, 0
	s_cselect_b32 s3, ttmp9, s24
	s_cmp_lg_u64 s[6:7], 0
	v_mad_nc_u64_u32 v[0:1], s2, s3, v[0:1]
	s_mul_u64 s[2:3], s[18:19], s[16:17]
	s_delay_alu instid0(SALU_CYCLE_1) | instskip(NEXT) | instid1(SALU_CYCLE_1)
	s_mul_u64 s[24:25], s[2:3], s[8:9]
	s_mul_u64 s[24:25], s[24:25], s[20:21]
	s_delay_alu instid0(VALU_DEP_1) | instid1(SALU_CYCLE_1)
	v_cmp_gt_u64_e32 vcc_lo, s[24:25], v[0:1]
	s_cselect_b32 s24, -1, 0
	s_delay_alu instid0(SALU_CYCLE_1) | instskip(NEXT) | instid1(SALU_CYCLE_1)
	s_and_b32 s24, vcc_lo, s24
	s_and_saveexec_b32 s25, s24
	s_cbranch_execz .LBB2_31
; %bb.1:
	s_mul_u64 s[24:25], s[2:3], s[20:21]
                                        ; implicit-def: $vgpr4_vgpr5
	s_mov_b32 s2, exec_lo
	v_or_b32_e32 v3, s25, v1
	s_delay_alu instid0(VALU_DEP_1)
	v_cmpx_ne_u64_e32 0, v[2:3]
	s_xor_b32 s3, exec_lo, s2
	s_cbranch_execz .LBB2_3
; %bb.2:
	s_ashr_i32 s26, s25, 31
	s_mov_b32 s39, 0
	s_mov_b32 s27, s26
	v_dual_mov_b32 v7, 0 :: v_dual_ashrrev_i32 v2, 31, v1
	s_add_nc_u64 s[28:29], s[24:25], s[26:27]
	s_delay_alu instid0(SALU_CYCLE_1) | instskip(NEXT) | instid1(VALU_DEP_1)
	s_xor_b64 s[28:29], s[28:29], s[26:27]
	v_mov_b32_e32 v3, v2
	s_cvt_f32_u32 s2, s28
	s_cvt_f32_u32 s25, s29
	s_sub_nc_u64 s[34:35], 0, s[28:29]
	s_delay_alu instid0(VALU_DEP_1) | instskip(NEXT) | instid1(SALU_CYCLE_1)
	v_add_nc_u64_e32 v[4:5], v[0:1], v[2:3]
	s_fmamk_f32 s2, s25, 0x4f800000, s2
	v_mov_b32_e32 v9, v7
	s_delay_alu instid0(SALU_CYCLE_2) | instskip(NEXT) | instid1(VALU_DEP_2)
	v_s_rcp_f32 s2, s2
	v_xor_b32_e32 v6, v4, v2
	s_delay_alu instid0(VALU_DEP_3) | instskip(SKIP_1) | instid1(TRANS32_DEP_1)
	v_dual_mov_b32 v15, v7 :: v_dual_bitop2_b32 v8, v5, v2 bitop3:0x14
	v_xor_b32_e32 v2, s26, v2
	s_mul_f32 s2, s2, 0x5f7ffffc
	s_delay_alu instid0(SALU_CYCLE_3) | instskip(NEXT) | instid1(SALU_CYCLE_3)
	s_mul_f32 s25, s2, 0x2f800000
	s_trunc_f32 s25, s25
	s_delay_alu instid0(SALU_CYCLE_3) | instskip(SKIP_1) | instid1(SALU_CYCLE_2)
	s_fmamk_f32 s2, s25, 0xcf800000, s2
	s_cvt_u32_f32 s31, s25
	s_cvt_u32_f32 s30, s2
	s_delay_alu instid0(SALU_CYCLE_3) | instskip(NEXT) | instid1(SALU_CYCLE_1)
	s_mul_u64 s[36:37], s[34:35], s[30:31]
	s_mul_hi_u32 s41, s30, s37
	s_mul_i32 s40, s30, s37
	s_mul_hi_u32 s38, s30, s36
	s_mul_i32 s25, s31, s36
	s_add_nc_u64 s[40:41], s[38:39], s[40:41]
	s_mul_hi_u32 s2, s31, s36
	s_mul_hi_u32 s27, s31, s37
	s_add_co_u32 s25, s40, s25
	s_add_co_ci_u32 s38, s41, s2
	s_mul_i32 s36, s31, s37
	s_add_co_ci_u32 s37, s27, 0
	s_delay_alu instid0(SALU_CYCLE_1) | instskip(NEXT) | instid1(SALU_CYCLE_1)
	s_add_nc_u64 s[36:37], s[38:39], s[36:37]
	s_add_co_u32 s30, s30, s36
	s_cselect_b32 s2, -1, 0
	s_delay_alu instid0(SALU_CYCLE_1) | instskip(SKIP_1) | instid1(SALU_CYCLE_1)
	s_cmp_lg_u32 s2, 0
	s_add_co_ci_u32 s31, s31, s37
	s_mul_u64 s[34:35], s[34:35], s[30:31]
	s_delay_alu instid0(SALU_CYCLE_1)
	s_mul_hi_u32 s37, s30, s35
	s_mul_i32 s36, s30, s35
	s_mul_hi_u32 s38, s30, s34
	s_mul_i32 s25, s31, s34
	s_add_nc_u64 s[36:37], s[38:39], s[36:37]
	s_mul_hi_u32 s2, s31, s34
	s_mul_hi_u32 s27, s31, s35
	s_add_co_u32 s25, s36, s25
	s_add_co_ci_u32 s38, s37, s2
	s_mul_i32 s34, s31, s35
	s_add_co_ci_u32 s35, s27, 0
	s_delay_alu instid0(SALU_CYCLE_1) | instskip(NEXT) | instid1(SALU_CYCLE_1)
	s_add_nc_u64 s[34:35], s[38:39], s[34:35]
	s_add_co_u32 s2, s30, s34
	s_cselect_b32 s25, -1, 0
	v_mul_hi_u32 v14, v6, s2
	s_cmp_lg_u32 s25, 0
	s_add_co_ci_u32 s38, s31, s35
	s_mov_b64 s[30:31], 0xffffffff
	v_mul_u64_e32 v[10:11], s[38:39], v[6:7]
	s_and_b64 s[30:31], s[2:3], s[30:31]
	v_mul_u64_e32 v[12:13], s[38:39], v[8:9]
	v_mul_u64_e32 v[4:5], s[30:31], v[8:9]
	s_delay_alu instid0(VALU_DEP_3) | instskip(NEXT) | instid1(VALU_DEP_1)
	v_add_nc_u64_e32 v[10:11], v[14:15], v[10:11]
	v_add_co_u32 v3, vcc_lo, v10, v4
	s_delay_alu instid0(VALU_DEP_2) | instskip(SKIP_1) | instid1(VALU_DEP_1)
	v_add_co_ci_u32_e32 v14, vcc_lo, v11, v5, vcc_lo
	v_add_co_ci_u32_e32 v13, vcc_lo, 0, v13, vcc_lo
	v_add_nc_u64_e32 v[4:5], v[14:15], v[12:13]
	s_delay_alu instid0(VALU_DEP_1) | instskip(NEXT) | instid1(VALU_DEP_1)
	v_mul_u64_e32 v[10:11], s[28:29], v[4:5]
	v_sub_nc_u32_e32 v3, v8, v11
	s_delay_alu instid0(VALU_DEP_2) | instskip(NEXT) | instid1(VALU_DEP_1)
	v_sub_co_u32 v6, vcc_lo, v6, v10
	v_sub_co_ci_u32_e64 v10, null, v8, v11, vcc_lo
	s_delay_alu instid0(VALU_DEP_3) | instskip(NEXT) | instid1(VALU_DEP_3)
	v_subrev_co_ci_u32_e64 v3, null, s29, v3, vcc_lo
	v_sub_co_u32 v7, s2, v6, s28
	s_delay_alu instid0(VALU_DEP_1) | instskip(NEXT) | instid1(VALU_DEP_2)
	v_subrev_co_ci_u32_e64 v3, null, 0, v3, s2
	v_cmp_le_u32_e32 vcc_lo, s28, v7
	v_cndmask_b32_e64 v7, 0, -1, vcc_lo
	s_delay_alu instid0(VALU_DEP_3)
	v_cmp_le_u32_e32 vcc_lo, s29, v3
	v_cndmask_b32_e64 v8, 0, -1, vcc_lo
	v_cmp_le_u32_e32 vcc_lo, s28, v6
	v_cndmask_b32_e64 v11, 0, -1, vcc_lo
	v_cmp_le_u32_e32 vcc_lo, s29, v10
	v_cndmask_b32_e64 v12, 0, -1, vcc_lo
	v_cmp_eq_u32_e32 vcc_lo, s29, v3
	v_cndmask_b32_e32 v3, v8, v7, vcc_lo
	v_cmp_eq_u32_e32 vcc_lo, s29, v10
	v_add_nc_u64_e32 v[6:7], 2, v[4:5]
	v_add_nc_u64_e32 v[8:9], 1, v[4:5]
	v_cndmask_b32_e32 v10, v12, v11, vcc_lo
	v_cmp_ne_u32_e32 vcc_lo, 0, v3
	s_delay_alu instid0(VALU_DEP_2) | instskip(NEXT) | instid1(VALU_DEP_4)
	v_cmp_ne_u32_e64 s2, 0, v10
	v_dual_cndmask_b32 v6, v8, v6 :: v_dual_cndmask_b32 v3, v9, v7
	s_delay_alu instid0(VALU_DEP_1) | instskip(NEXT) | instid1(VALU_DEP_1)
	v_dual_cndmask_b32 v4, v4, v6, s2 :: v_dual_cndmask_b32 v5, v5, v3, s2
	v_dual_mov_b32 v3, v2 :: v_dual_bitop2_b32 v4, v4, v2 bitop3:0x14
	s_delay_alu instid0(VALU_DEP_2) | instskip(NEXT) | instid1(VALU_DEP_1)
	v_xor_b32_e32 v5, v5, v2
	v_sub_nc_u64_e32 v[4:5], v[4:5], v[2:3]
.LBB2_3:
	s_and_not1_saveexec_b32 s2, s3
	s_cbranch_execz .LBB2_5
; %bb.4:
	v_cvt_f32_u32_e32 v2, s24
	s_sub_co_i32 s3, 0, s24
	s_delay_alu instid0(VALU_DEP_1) | instskip(SKIP_1) | instid1(TRANS32_DEP_1)
	v_rcp_iflag_f32_e32 v2, v2
	v_nop
	v_mul_f32_e32 v2, 0x4f7ffffe, v2
	s_delay_alu instid0(VALU_DEP_1) | instskip(NEXT) | instid1(VALU_DEP_1)
	v_cvt_u32_f32_e32 v2, v2
	v_mul_lo_u32 v3, s3, v2
	s_delay_alu instid0(VALU_DEP_1) | instskip(NEXT) | instid1(VALU_DEP_1)
	v_mul_hi_u32 v3, v2, v3
	v_add_nc_u32_e32 v2, v2, v3
	s_delay_alu instid0(VALU_DEP_1) | instskip(NEXT) | instid1(VALU_DEP_1)
	v_mul_hi_u32 v2, v0, v2
	v_mul_lo_u32 v3, v2, s24
	s_delay_alu instid0(VALU_DEP_1) | instskip(NEXT) | instid1(VALU_DEP_1)
	v_dual_add_nc_u32 v4, 1, v2 :: v_dual_sub_nc_u32 v3, v0, v3
	v_subrev_nc_u32_e32 v5, s24, v3
	v_cmp_le_u32_e32 vcc_lo, s24, v3
	s_delay_alu instid0(VALU_DEP_2) | instskip(NEXT) | instid1(VALU_DEP_4)
	v_dual_cndmask_b32 v3, v3, v5, vcc_lo :: v_dual_mov_b32 v5, 0
	v_cndmask_b32_e32 v2, v2, v4, vcc_lo
	s_delay_alu instid0(VALU_DEP_2) | instskip(NEXT) | instid1(VALU_DEP_2)
	v_cmp_le_u32_e32 vcc_lo, s24, v3
	v_add_nc_u32_e32 v4, 1, v2
	s_delay_alu instid0(VALU_DEP_1)
	v_cndmask_b32_e32 v4, v2, v4, vcc_lo
.LBB2_5:
	s_or_b32 exec_lo, exec_lo, s2
	s_delay_alu instid0(VALU_DEP_1) | instskip(SKIP_1) | instid1(VALU_DEP_1)
	v_dual_mov_b32 v6, 0 :: v_dual_bitop2_b32 v7, s9, v5 bitop3:0x54
                                        ; implicit-def: $vgpr2_vgpr3
	s_mov_b32 s2, exec_lo
	v_cmpx_ne_u64_e32 0, v[6:7]
	s_xor_b32 s3, exec_lo, s2
	s_cbranch_execz .LBB2_7
; %bb.6:
	s_cvt_f32_u32 s2, s8
	s_cvt_f32_u32 s24, s9
	s_sub_nc_u64 s[26:27], 0, s[8:9]
	s_mov_b32 s31, 0
	v_dual_mov_b32 v2, v4 :: v_dual_mov_b32 v3, v6
	s_fmamk_f32 s2, s24, 0x4f800000, s2
	v_dual_mov_b32 v8, v5 :: v_dual_mov_b32 v9, v6
	v_dual_mov_b32 v13, v6 :: v_dual_mov_b32 v7, v6
	s_delay_alu instid0(SALU_CYCLE_1) | instskip(NEXT) | instid1(TRANS32_DEP_1)
	v_s_rcp_f32 s2, s2
	s_mul_f32 s2, s2, 0x5f7ffffc
	s_delay_alu instid0(SALU_CYCLE_3) | instskip(NEXT) | instid1(SALU_CYCLE_3)
	s_mul_f32 s24, s2, 0x2f800000
	s_trunc_f32 s24, s24
	s_delay_alu instid0(SALU_CYCLE_3) | instskip(SKIP_1) | instid1(SALU_CYCLE_2)
	s_fmamk_f32 s2, s24, 0xcf800000, s2
	s_cvt_u32_f32 s25, s24
	s_cvt_u32_f32 s24, s2
	s_delay_alu instid0(SALU_CYCLE_3) | instskip(NEXT) | instid1(SALU_CYCLE_1)
	s_mul_u64 s[28:29], s[26:27], s[24:25]
	s_mul_hi_u32 s35, s24, s29
	s_mul_i32 s34, s24, s29
	s_mul_hi_u32 s30, s24, s28
	s_mul_i32 s33, s25, s28
	s_add_nc_u64 s[34:35], s[30:31], s[34:35]
	s_mul_hi_u32 s2, s25, s28
	s_mul_hi_u32 s36, s25, s29
	s_mul_i32 s28, s25, s29
	s_add_co_u32 s29, s34, s33
	s_add_co_ci_u32 s30, s35, s2
	s_add_co_ci_u32 s29, s36, 0
	s_delay_alu instid0(SALU_CYCLE_1) | instskip(NEXT) | instid1(SALU_CYCLE_1)
	s_add_nc_u64 s[28:29], s[30:31], s[28:29]
	s_add_co_u32 s24, s24, s28
	s_cselect_b32 s2, -1, 0
	s_delay_alu instid0(SALU_CYCLE_1) | instskip(SKIP_1) | instid1(SALU_CYCLE_1)
	s_cmp_lg_u32 s2, 0
	s_add_co_ci_u32 s25, s25, s29
	s_mul_u64 s[26:27], s[26:27], s[24:25]
	s_delay_alu instid0(SALU_CYCLE_1)
	s_mul_hi_u32 s29, s24, s27
	s_mul_i32 s28, s24, s27
	s_mul_hi_u32 s30, s24, s26
	s_mul_i32 s33, s25, s26
	s_add_nc_u64 s[28:29], s[30:31], s[28:29]
	s_mul_hi_u32 s2, s25, s26
	s_mul_hi_u32 s34, s25, s27
	s_mul_i32 s26, s25, s27
	s_add_co_u32 s27, s28, s33
	s_add_co_ci_u32 s30, s29, s2
	s_add_co_ci_u32 s27, s34, 0
	s_delay_alu instid0(SALU_CYCLE_1) | instskip(NEXT) | instid1(SALU_CYCLE_1)
	s_add_nc_u64 s[26:27], s[30:31], s[26:27]
	s_add_co_u32 s2, s24, s26
	s_cselect_b32 s24, -1, 0
	v_nop
	v_mul_hi_u32 v12, v4, s2
	s_cmp_lg_u32 s24, 0
	s_add_co_ci_u32 s30, s25, s27
	s_mov_b64 s[24:25], 0xffffffff
	v_mul_u64_e32 v[2:3], s[30:31], v[2:3]
	s_and_b64 s[24:25], s[2:3], s[24:25]
	s_delay_alu instid0(SALU_CYCLE_1) | instskip(SKIP_1) | instid1(VALU_DEP_3)
	v_mul_u64_e32 v[10:11], s[24:25], v[8:9]
	v_mul_u64_e32 v[8:9], s[30:31], v[8:9]
	v_add_nc_u64_e32 v[2:3], v[12:13], v[2:3]
	s_delay_alu instid0(VALU_DEP_1) | instskip(NEXT) | instid1(VALU_DEP_2)
	v_add_co_u32 v2, vcc_lo, v2, v10
	v_add_co_ci_u32_e32 v6, vcc_lo, v3, v11, vcc_lo
	s_delay_alu instid0(VALU_DEP_4) | instskip(NEXT) | instid1(VALU_DEP_1)
	v_add_co_ci_u32_e32 v9, vcc_lo, 0, v9, vcc_lo
	v_add_nc_u64_e32 v[2:3], v[6:7], v[8:9]
	s_delay_alu instid0(VALU_DEP_1) | instskip(NEXT) | instid1(VALU_DEP_1)
	v_mul_u64_e32 v[2:3], s[8:9], v[2:3]
	v_sub_nc_u32_e32 v6, v5, v3
	s_delay_alu instid0(VALU_DEP_2) | instskip(NEXT) | instid1(VALU_DEP_1)
	v_sub_co_u32 v2, vcc_lo, v4, v2
	v_sub_co_ci_u32_e64 v3, null, v5, v3, vcc_lo
	s_delay_alu instid0(VALU_DEP_3) | instskip(NEXT) | instid1(VALU_DEP_3)
	v_subrev_co_ci_u32_e64 v4, null, s9, v6, vcc_lo
	v_sub_co_u32 v5, vcc_lo, v2, s8
	v_cmp_le_u32_e64 s2, s8, v2
	s_delay_alu instid0(VALU_DEP_3) | instskip(SKIP_1) | instid1(VALU_DEP_3)
	v_subrev_co_ci_u32_e64 v6, null, 0, v4, vcc_lo
	v_subrev_co_ci_u32_e64 v4, null, s9, v4, vcc_lo
	v_cndmask_b32_e64 v7, 0, -1, s2
	v_cmp_le_u32_e64 s2, s8, v5
	v_cmp_le_u32_e32 vcc_lo, s9, v3
	s_delay_alu instid0(VALU_DEP_2) | instskip(SKIP_3) | instid1(VALU_DEP_3)
	v_cndmask_b32_e64 v8, 0, -1, s2
	v_cmp_le_u32_e64 s2, s9, v6
	v_cndmask_b32_e64 v10, 0, -1, vcc_lo
	v_cmp_eq_u32_e32 vcc_lo, s9, v6
	v_cndmask_b32_e64 v9, 0, -1, s2
	s_delay_alu instid0(VALU_DEP_1) | instskip(SKIP_1) | instid1(VALU_DEP_1)
	v_cndmask_b32_e32 v6, v9, v8, vcc_lo
	v_sub_co_u32 v8, vcc_lo, v5, s8
	v_subrev_co_ci_u32_e64 v4, null, 0, v4, vcc_lo
	v_cmp_eq_u32_e32 vcc_lo, s9, v3
	v_cndmask_b32_e32 v3, v10, v7, vcc_lo
	v_cmp_ne_u32_e32 vcc_lo, 0, v6
	v_cndmask_b32_e32 v4, v5, v8, vcc_lo
	s_delay_alu instid0(VALU_DEP_3) | instskip(NEXT) | instid1(VALU_DEP_2)
	v_cmp_ne_u32_e32 vcc_lo, 0, v3
	v_cndmask_b32_e32 v2, v2, v4, vcc_lo
                                        ; implicit-def: $vgpr4_vgpr5
.LBB2_7:
	s_and_not1_saveexec_b32 s2, s3
	s_cbranch_execz .LBB2_9
; %bb.8:
	v_cvt_f32_u32_e32 v2, s8
	s_sub_co_i32 s3, 0, s8
	s_delay_alu instid0(VALU_DEP_1) | instskip(SKIP_1) | instid1(TRANS32_DEP_1)
	v_rcp_iflag_f32_e32 v2, v2
	v_nop
	v_mul_f32_e32 v2, 0x4f7ffffe, v2
	s_delay_alu instid0(VALU_DEP_1) | instskip(NEXT) | instid1(VALU_DEP_1)
	v_cvt_u32_f32_e32 v2, v2
	v_mul_lo_u32 v3, s3, v2
	s_delay_alu instid0(VALU_DEP_1) | instskip(NEXT) | instid1(VALU_DEP_1)
	v_mul_hi_u32 v3, v2, v3
	v_add_nc_u32_e32 v2, v2, v3
	s_delay_alu instid0(VALU_DEP_1) | instskip(NEXT) | instid1(VALU_DEP_1)
	v_mul_hi_u32 v2, v4, v2
	v_mul_lo_u32 v2, v2, s8
	s_delay_alu instid0(VALU_DEP_1) | instskip(NEXT) | instid1(VALU_DEP_1)
	v_sub_nc_u32_e32 v2, v4, v2
	v_subrev_nc_u32_e32 v3, s8, v2
	v_cmp_le_u32_e32 vcc_lo, s8, v2
	s_delay_alu instid0(VALU_DEP_2) | instskip(NEXT) | instid1(VALU_DEP_1)
	v_cndmask_b32_e32 v2, v2, v3, vcc_lo
	v_subrev_nc_u32_e32 v3, s8, v2
	v_cmp_le_u32_e32 vcc_lo, s8, v2
	s_delay_alu instid0(VALU_DEP_2)
	v_cndmask_b32_e32 v2, v2, v3, vcc_lo
.LBB2_9:
	s_or_b32 exec_lo, exec_lo, s2
	v_dual_mov_b32 v6, 0 :: v_dual_bitop2_b32 v7, s21, v1 bitop3:0x54
	s_cvt_f32_u32 s29, s20
	s_cvt_f32_u32 s30, s21
	s_sub_nc_u64 s[26:27], 0, s[20:21]
                                        ; implicit-def: $vgpr4_vgpr5
	s_mov_b32 s2, exec_lo
	v_cmpx_ne_u64_e32 0, v[6:7]
	s_xor_b32 s3, exec_lo, s2
	s_cbranch_execz .LBB2_11
; %bb.10:
	s_fmamk_f32 s2, s30, 0x4f800000, s29
	s_mov_b32 s37, 0
	v_dual_mov_b32 v4, v0 :: v_dual_mov_b32 v5, v6
	s_delay_alu instid0(SALU_CYCLE_1) | instskip(SKIP_2) | instid1(TRANS32_DEP_1)
	v_s_rcp_f32 s2, s2
	v_dual_mov_b32 v8, v1 :: v_dual_mov_b32 v9, v6
	v_dual_mov_b32 v13, v6 :: v_dual_mov_b32 v7, v6
	s_mul_f32 s2, s2, 0x5f7ffffc
	s_delay_alu instid0(SALU_CYCLE_3) | instskip(NEXT) | instid1(SALU_CYCLE_3)
	s_mul_f32 s24, s2, 0x2f800000
	s_trunc_f32 s24, s24
	s_delay_alu instid0(SALU_CYCLE_3) | instskip(SKIP_1) | instid1(SALU_CYCLE_2)
	s_fmamk_f32 s2, s24, 0xcf800000, s2
	s_cvt_u32_f32 s25, s24
	s_cvt_u32_f32 s24, s2
	s_delay_alu instid0(SALU_CYCLE_3) | instskip(NEXT) | instid1(SALU_CYCLE_1)
	s_mul_u64 s[34:35], s[26:27], s[24:25]
	s_mul_hi_u32 s39, s24, s35
	s_mul_i32 s38, s24, s35
	s_mul_hi_u32 s36, s24, s34
	s_mul_i32 s28, s25, s34
	s_add_nc_u64 s[38:39], s[36:37], s[38:39]
	s_mul_hi_u32 s2, s25, s34
	s_mul_hi_u32 s31, s25, s35
	s_add_co_u32 s28, s38, s28
	s_add_co_ci_u32 s36, s39, s2
	s_mul_i32 s34, s25, s35
	s_add_co_ci_u32 s35, s31, 0
	s_delay_alu instid0(SALU_CYCLE_1) | instskip(NEXT) | instid1(SALU_CYCLE_1)
	s_add_nc_u64 s[34:35], s[36:37], s[34:35]
	s_add_co_u32 s24, s24, s34
	s_cselect_b32 s2, -1, 0
	s_delay_alu instid0(SALU_CYCLE_1) | instskip(SKIP_1) | instid1(SALU_CYCLE_1)
	s_cmp_lg_u32 s2, 0
	s_add_co_ci_u32 s25, s25, s35
	s_mul_u64 s[34:35], s[26:27], s[24:25]
	s_delay_alu instid0(SALU_CYCLE_1)
	s_mul_hi_u32 s39, s24, s35
	s_mul_i32 s38, s24, s35
	s_mul_hi_u32 s36, s24, s34
	s_mul_i32 s28, s25, s34
	s_add_nc_u64 s[38:39], s[36:37], s[38:39]
	s_mul_hi_u32 s2, s25, s34
	s_mul_hi_u32 s31, s25, s35
	s_add_co_u32 s28, s38, s28
	s_add_co_ci_u32 s36, s39, s2
	s_mul_i32 s34, s25, s35
	s_add_co_ci_u32 s35, s31, 0
	s_delay_alu instid0(SALU_CYCLE_1) | instskip(NEXT) | instid1(SALU_CYCLE_1)
	s_add_nc_u64 s[34:35], s[36:37], s[34:35]
	s_add_co_u32 s2, s24, s34
	s_cselect_b32 s24, -1, 0
	v_mul_hi_u32 v12, v0, s2
	s_cmp_lg_u32 s24, 0
	s_add_co_ci_u32 s36, s25, s35
	s_mov_b64 s[24:25], 0xffffffff
	v_mul_u64_e32 v[4:5], s[36:37], v[4:5]
	s_and_b64 s[24:25], s[2:3], s[24:25]
	s_delay_alu instid0(SALU_CYCLE_1) | instskip(SKIP_1) | instid1(VALU_DEP_3)
	v_mul_u64_e32 v[10:11], s[24:25], v[8:9]
	v_mul_u64_e32 v[8:9], s[36:37], v[8:9]
	v_add_nc_u64_e32 v[4:5], v[12:13], v[4:5]
	s_delay_alu instid0(VALU_DEP_1) | instskip(NEXT) | instid1(VALU_DEP_2)
	v_add_co_u32 v3, vcc_lo, v4, v10
	v_add_co_ci_u32_e32 v6, vcc_lo, v5, v11, vcc_lo
	s_delay_alu instid0(VALU_DEP_4) | instskip(NEXT) | instid1(VALU_DEP_1)
	v_add_co_ci_u32_e32 v9, vcc_lo, 0, v9, vcc_lo
	v_add_nc_u64_e32 v[4:5], v[6:7], v[8:9]
	s_delay_alu instid0(VALU_DEP_1) | instskip(SKIP_1) | instid1(VALU_DEP_2)
	v_mul_u64_e32 v[6:7], s[20:21], v[4:5]
	v_add_nc_u64_e32 v[8:9], 2, v[4:5]
	v_sub_nc_u32_e32 v3, v1, v7
	s_delay_alu instid0(VALU_DEP_3) | instskip(NEXT) | instid1(VALU_DEP_1)
	v_sub_co_u32 v6, vcc_lo, v0, v6
	v_sub_co_ci_u32_e64 v12, null, v1, v7, vcc_lo
	s_delay_alu instid0(VALU_DEP_3) | instskip(NEXT) | instid1(VALU_DEP_3)
	v_subrev_co_ci_u32_e64 v3, null, s21, v3, vcc_lo
	v_sub_co_u32 v10, s2, v6, s20
	v_cmp_le_u32_e32 vcc_lo, s20, v6
	s_delay_alu instid0(VALU_DEP_3) | instskip(NEXT) | instid1(VALU_DEP_3)
	v_subrev_co_ci_u32_e64 v3, null, 0, v3, s2
	v_cmp_le_u32_e64 s2, s20, v10
	v_add_nc_u64_e32 v[6:7], 1, v[4:5]
	v_cndmask_b32_e64 v13, 0, -1, vcc_lo
	s_delay_alu instid0(VALU_DEP_4) | instskip(NEXT) | instid1(VALU_DEP_4)
	v_cmp_eq_u32_e32 vcc_lo, s21, v3
	v_cndmask_b32_e64 v10, 0, -1, s2
	v_cmp_le_u32_e64 s2, s21, v3
	s_delay_alu instid0(VALU_DEP_1) | instskip(SKIP_1) | instid1(VALU_DEP_2)
	v_cndmask_b32_e64 v11, 0, -1, s2
	v_cmp_eq_u32_e64 s2, s21, v12
	v_cndmask_b32_e32 v3, v11, v10, vcc_lo
	v_cmp_le_u32_e32 vcc_lo, s21, v12
	v_cndmask_b32_e64 v10, 0, -1, vcc_lo
	s_delay_alu instid0(VALU_DEP_3) | instskip(SKIP_1) | instid1(VALU_DEP_3)
	v_cmp_ne_u32_e32 vcc_lo, 0, v3
	v_cndmask_b32_e32 v7, v7, v9, vcc_lo
	v_cndmask_b32_e64 v3, v10, v13, s2
	v_cndmask_b32_e32 v6, v6, v8, vcc_lo
	s_delay_alu instid0(VALU_DEP_2) | instskip(NEXT) | instid1(VALU_DEP_2)
	v_cmp_ne_u32_e32 vcc_lo, 0, v3
	v_dual_cndmask_b32 v5, v5, v7 :: v_dual_cndmask_b32 v4, v4, v6
.LBB2_11:
	s_or_saveexec_b32 s2, s3
	v_cvt_f32_u32_e32 v12, s20
	s_xor_b32 exec_lo, exec_lo, s2
	s_cbranch_execz .LBB2_13
; %bb.12:
	s_delay_alu instid0(VALU_DEP_1) | instskip(SKIP_2) | instid1(TRANS32_DEP_1)
	v_rcp_iflag_f32_e32 v3, v12
	s_sub_co_i32 s3, 0, s20
	v_nop
	v_mul_f32_e32 v3, 0x4f7ffffe, v3
	s_delay_alu instid0(VALU_DEP_1) | instskip(NEXT) | instid1(VALU_DEP_1)
	v_cvt_u32_f32_e32 v3, v3
	v_mul_lo_u32 v4, s3, v3
	s_delay_alu instid0(VALU_DEP_1) | instskip(NEXT) | instid1(VALU_DEP_1)
	v_mul_hi_u32 v4, v3, v4
	v_add_nc_u32_e32 v3, v3, v4
	s_delay_alu instid0(VALU_DEP_1) | instskip(NEXT) | instid1(VALU_DEP_1)
	v_mul_hi_u32 v3, v0, v3
	v_mul_lo_u32 v4, v3, s20
	s_delay_alu instid0(VALU_DEP_1) | instskip(NEXT) | instid1(VALU_DEP_1)
	v_dual_add_nc_u32 v5, 1, v3 :: v_dual_sub_nc_u32 v4, v0, v4
	v_subrev_nc_u32_e32 v6, s20, v4
	v_cmp_le_u32_e32 vcc_lo, s20, v4
	s_delay_alu instid0(VALU_DEP_2) | instskip(NEXT) | instid1(VALU_DEP_1)
	v_dual_cndmask_b32 v4, v4, v6 :: v_dual_cndmask_b32 v3, v3, v5
	v_cmp_le_u32_e32 vcc_lo, s20, v4
	s_delay_alu instid0(VALU_DEP_2) | instskip(NEXT) | instid1(VALU_DEP_1)
	v_add_nc_u32_e32 v5, 1, v3
	v_dual_cndmask_b32 v4, v3, v5 :: v_dual_mov_b32 v5, 0
.LBB2_13:
	s_or_b32 exec_lo, exec_lo, s2
	v_dual_mov_b32 v8, 0 :: v_dual_bitop2_b32 v9, s19, v1 bitop3:0x54
	s_cvt_f32_u32 s3, s18
	s_cvt_f32_u32 s28, s19
	s_sub_nc_u64 s[24:25], 0, s[18:19]
                                        ; implicit-def: $vgpr6_vgpr7
	s_mov_b32 s2, exec_lo
	v_cmpx_ne_u64_e32 0, v[8:9]
	s_xor_b32 s31, exec_lo, s2
	s_cbranch_execz .LBB2_15
; %bb.14:
	s_fmamk_f32 s2, s28, 0x4f800000, s3
	s_mov_b32 s39, 0
	v_dual_mov_b32 v6, v0 :: v_dual_mov_b32 v7, v8
	s_delay_alu instid0(SALU_CYCLE_1) | instskip(SKIP_2) | instid1(TRANS32_DEP_1)
	v_s_rcp_f32 s2, s2
	v_dual_mov_b32 v10, v1 :: v_dual_mov_b32 v11, v8
	v_dual_mov_b32 v17, v8 :: v_dual_mov_b32 v9, v8
	s_mul_f32 s2, s2, 0x5f7ffffc
	s_delay_alu instid0(SALU_CYCLE_3) | instskip(NEXT) | instid1(SALU_CYCLE_3)
	s_mul_f32 s33, s2, 0x2f800000
	s_trunc_f32 s33, s33
	s_delay_alu instid0(SALU_CYCLE_3) | instskip(SKIP_1) | instid1(SALU_CYCLE_2)
	s_fmamk_f32 s2, s33, 0xcf800000, s2
	s_cvt_u32_f32 s35, s33
	s_cvt_u32_f32 s34, s2
	s_delay_alu instid0(SALU_CYCLE_3) | instskip(NEXT) | instid1(SALU_CYCLE_1)
	s_mul_u64 s[36:37], s[24:25], s[34:35]
	s_mul_hi_u32 s41, s34, s37
	s_mul_i32 s40, s34, s37
	s_mul_hi_u32 s38, s34, s36
	s_mul_i32 s33, s35, s36
	s_add_nc_u64 s[40:41], s[38:39], s[40:41]
	s_mul_hi_u32 s2, s35, s36
	s_mul_hi_u32 s42, s35, s37
	s_add_co_u32 s33, s40, s33
	s_add_co_ci_u32 s38, s41, s2
	s_mul_i32 s36, s35, s37
	s_add_co_ci_u32 s37, s42, 0
	s_delay_alu instid0(SALU_CYCLE_1) | instskip(NEXT) | instid1(SALU_CYCLE_1)
	s_add_nc_u64 s[36:37], s[38:39], s[36:37]
	s_add_co_u32 s34, s34, s36
	s_cselect_b32 s2, -1, 0
	s_delay_alu instid0(SALU_CYCLE_1) | instskip(SKIP_1) | instid1(SALU_CYCLE_1)
	s_cmp_lg_u32 s2, 0
	s_add_co_ci_u32 s35, s35, s37
	s_mul_u64 s[36:37], s[24:25], s[34:35]
	s_delay_alu instid0(SALU_CYCLE_1)
	s_mul_hi_u32 s41, s34, s37
	s_mul_i32 s40, s34, s37
	s_mul_hi_u32 s38, s34, s36
	s_mul_i32 s33, s35, s36
	s_add_nc_u64 s[40:41], s[38:39], s[40:41]
	s_mul_hi_u32 s2, s35, s36
	s_mul_hi_u32 s42, s35, s37
	s_add_co_u32 s33, s40, s33
	s_add_co_ci_u32 s38, s41, s2
	s_mul_i32 s36, s35, s37
	s_add_co_ci_u32 s37, s42, 0
	s_delay_alu instid0(SALU_CYCLE_1) | instskip(NEXT) | instid1(SALU_CYCLE_1)
	s_add_nc_u64 s[36:37], s[38:39], s[36:37]
	s_add_co_u32 s2, s34, s36
	s_cselect_b32 s33, -1, 0
	v_mul_hi_u32 v16, v0, s2
	s_cmp_lg_u32 s33, 0
	s_add_co_ci_u32 s38, s35, s37
	s_mov_b64 s[34:35], 0xffffffff
	v_mul_u64_e32 v[6:7], s[38:39], v[6:7]
	s_and_b64 s[34:35], s[2:3], s[34:35]
	s_delay_alu instid0(SALU_CYCLE_1) | instskip(SKIP_1) | instid1(VALU_DEP_3)
	v_mul_u64_e32 v[14:15], s[34:35], v[10:11]
	v_mul_u64_e32 v[10:11], s[38:39], v[10:11]
	v_add_nc_u64_e32 v[6:7], v[16:17], v[6:7]
	s_delay_alu instid0(VALU_DEP_1) | instskip(NEXT) | instid1(VALU_DEP_2)
	v_add_co_u32 v3, vcc_lo, v6, v14
	v_add_co_ci_u32_e32 v8, vcc_lo, v7, v15, vcc_lo
	s_delay_alu instid0(VALU_DEP_4) | instskip(NEXT) | instid1(VALU_DEP_1)
	v_add_co_ci_u32_e32 v11, vcc_lo, 0, v11, vcc_lo
	v_add_nc_u64_e32 v[6:7], v[8:9], v[10:11]
	s_delay_alu instid0(VALU_DEP_1) | instskip(SKIP_1) | instid1(VALU_DEP_2)
	v_mul_u64_e32 v[8:9], s[18:19], v[6:7]
	v_add_nc_u64_e32 v[10:11], 2, v[6:7]
	v_sub_nc_u32_e32 v3, v1, v9
	s_delay_alu instid0(VALU_DEP_3) | instskip(NEXT) | instid1(VALU_DEP_1)
	v_sub_co_u32 v8, vcc_lo, v0, v8
	v_sub_co_ci_u32_e64 v15, null, v1, v9, vcc_lo
	s_delay_alu instid0(VALU_DEP_3) | instskip(NEXT) | instid1(VALU_DEP_3)
	v_subrev_co_ci_u32_e64 v3, null, s19, v3, vcc_lo
	v_sub_co_u32 v13, s2, v8, s18
	v_cmp_le_u32_e32 vcc_lo, s18, v8
	s_delay_alu instid0(VALU_DEP_3) | instskip(NEXT) | instid1(VALU_DEP_3)
	v_subrev_co_ci_u32_e64 v3, null, 0, v3, s2
	v_cmp_le_u32_e64 s2, s18, v13
	v_add_nc_u64_e32 v[8:9], 1, v[6:7]
	v_cndmask_b32_e64 v16, 0, -1, vcc_lo
	s_delay_alu instid0(VALU_DEP_4) | instskip(NEXT) | instid1(VALU_DEP_4)
	v_cmp_eq_u32_e32 vcc_lo, s19, v3
	v_cndmask_b32_e64 v13, 0, -1, s2
	v_cmp_le_u32_e64 s2, s19, v3
	s_delay_alu instid0(VALU_DEP_1) | instskip(SKIP_1) | instid1(VALU_DEP_2)
	v_cndmask_b32_e64 v14, 0, -1, s2
	v_cmp_eq_u32_e64 s2, s19, v15
	v_cndmask_b32_e32 v3, v14, v13, vcc_lo
	v_cmp_le_u32_e32 vcc_lo, s19, v15
	v_cndmask_b32_e64 v13, 0, -1, vcc_lo
	s_delay_alu instid0(VALU_DEP_3) | instskip(SKIP_1) | instid1(VALU_DEP_3)
	v_cmp_ne_u32_e32 vcc_lo, 0, v3
	v_cndmask_b32_e32 v9, v9, v11, vcc_lo
	v_dual_cndmask_b32 v3, v13, v16, s2 :: v_dual_cndmask_b32 v8, v8, v10, vcc_lo
	s_delay_alu instid0(VALU_DEP_1) | instskip(NEXT) | instid1(VALU_DEP_2)
	v_cmp_ne_u32_e32 vcc_lo, 0, v3
	v_dual_cndmask_b32 v7, v7, v9 :: v_dual_cndmask_b32 v6, v6, v8
.LBB2_15:
	s_or_saveexec_b32 s2, s31
	v_cvt_f32_u32_e32 v3, s18
	s_xor_b32 exec_lo, exec_lo, s2
	s_cbranch_execz .LBB2_17
; %bb.16:
	s_delay_alu instid0(VALU_DEP_1) | instskip(SKIP_2) | instid1(TRANS32_DEP_1)
	v_rcp_iflag_f32_e32 v6, v3
	s_sub_co_i32 s31, 0, s18
	v_nop
	v_mul_f32_e32 v6, 0x4f7ffffe, v6
	s_delay_alu instid0(VALU_DEP_1) | instskip(NEXT) | instid1(VALU_DEP_1)
	v_cvt_u32_f32_e32 v6, v6
	v_mul_lo_u32 v7, s31, v6
	s_delay_alu instid0(VALU_DEP_1) | instskip(NEXT) | instid1(VALU_DEP_1)
	v_mul_hi_u32 v7, v6, v7
	v_add_nc_u32_e32 v6, v6, v7
	s_delay_alu instid0(VALU_DEP_1) | instskip(NEXT) | instid1(VALU_DEP_1)
	v_mul_hi_u32 v6, v0, v6
	v_mul_lo_u32 v7, v6, s18
	s_delay_alu instid0(VALU_DEP_1) | instskip(NEXT) | instid1(VALU_DEP_1)
	v_dual_add_nc_u32 v8, 1, v6 :: v_dual_sub_nc_u32 v7, v0, v7
	v_subrev_nc_u32_e32 v9, s18, v7
	v_cmp_le_u32_e32 vcc_lo, s18, v7
	s_delay_alu instid0(VALU_DEP_2) | instskip(NEXT) | instid1(VALU_DEP_1)
	v_dual_cndmask_b32 v7, v7, v9 :: v_dual_cndmask_b32 v6, v6, v8
	v_cmp_le_u32_e32 vcc_lo, s18, v7
	s_delay_alu instid0(VALU_DEP_2) | instskip(NEXT) | instid1(VALU_DEP_1)
	v_dual_mov_b32 v7, 0 :: v_dual_add_nc_u32 v8, 1, v6
	v_cndmask_b32_e32 v6, v6, v8, vcc_lo
.LBB2_17:
	s_or_b32 exec_lo, exec_lo, s2
	s_delay_alu instid0(VALU_DEP_2) | instskip(SKIP_1) | instid1(VALU_DEP_1)
	v_dual_mov_b32 v10, 0 :: v_dual_bitop2_b32 v11, s21, v7 bitop3:0x54
                                        ; implicit-def: $vgpr8_vgpr9
	s_mov_b32 s2, exec_lo
	v_cmpx_ne_u64_e32 0, v[10:11]
	s_xor_b32 s31, exec_lo, s2
	s_cbranch_execz .LBB2_19
; %bb.18:
	s_fmamk_f32 s2, s30, 0x4f800000, s29
	s_mov_b32 s39, 0
	v_dual_mov_b32 v8, v6 :: v_dual_mov_b32 v9, v10
	s_delay_alu instid0(SALU_CYCLE_1) | instskip(SKIP_2) | instid1(TRANS32_DEP_1)
	v_s_rcp_f32 s2, s2
	v_dual_mov_b32 v12, v7 :: v_dual_mov_b32 v13, v10
	v_dual_mov_b32 v17, v10 :: v_dual_mov_b32 v11, v10
	s_mul_f32 s2, s2, 0x5f7ffffc
	s_delay_alu instid0(SALU_CYCLE_3) | instskip(NEXT) | instid1(SALU_CYCLE_3)
	s_mul_f32 s29, s2, 0x2f800000
	s_trunc_f32 s29, s29
	s_delay_alu instid0(SALU_CYCLE_3) | instskip(SKIP_1) | instid1(SALU_CYCLE_2)
	s_fmamk_f32 s2, s29, 0xcf800000, s2
	s_cvt_u32_f32 s35, s29
	s_cvt_u32_f32 s34, s2
	s_delay_alu instid0(SALU_CYCLE_3) | instskip(NEXT) | instid1(SALU_CYCLE_1)
	s_mul_u64 s[36:37], s[26:27], s[34:35]
	s_mul_hi_u32 s41, s34, s37
	s_mul_i32 s40, s34, s37
	s_mul_hi_u32 s38, s34, s36
	s_mul_i32 s29, s35, s36
	s_add_nc_u64 s[40:41], s[38:39], s[40:41]
	s_mul_hi_u32 s2, s35, s36
	s_mul_hi_u32 s30, s35, s37
	s_add_co_u32 s29, s40, s29
	s_add_co_ci_u32 s38, s41, s2
	s_mul_i32 s36, s35, s37
	s_add_co_ci_u32 s37, s30, 0
	s_delay_alu instid0(SALU_CYCLE_1) | instskip(NEXT) | instid1(SALU_CYCLE_1)
	s_add_nc_u64 s[36:37], s[38:39], s[36:37]
	s_add_co_u32 s34, s34, s36
	s_cselect_b32 s2, -1, 0
	s_delay_alu instid0(SALU_CYCLE_1) | instskip(SKIP_1) | instid1(SALU_CYCLE_1)
	s_cmp_lg_u32 s2, 0
	s_add_co_ci_u32 s35, s35, s37
	s_mul_u64 s[26:27], s[26:27], s[34:35]
	s_delay_alu instid0(SALU_CYCLE_1)
	s_mul_hi_u32 s37, s34, s27
	s_mul_i32 s36, s34, s27
	s_mul_hi_u32 s38, s34, s26
	s_mul_i32 s29, s35, s26
	s_add_nc_u64 s[36:37], s[38:39], s[36:37]
	s_mul_hi_u32 s2, s35, s26
	s_mul_hi_u32 s30, s35, s27
	s_mul_i32 s26, s35, s27
	s_add_co_u32 s27, s36, s29
	s_add_co_ci_u32 s38, s37, s2
	s_add_co_ci_u32 s27, s30, 0
	s_delay_alu instid0(SALU_CYCLE_1) | instskip(NEXT) | instid1(SALU_CYCLE_1)
	s_add_nc_u64 s[26:27], s[38:39], s[26:27]
	s_add_co_u32 s2, s34, s26
	s_cselect_b32 s26, -1, 0
	v_mul_hi_u32 v16, v6, s2
	s_cmp_lg_u32 s26, 0
	s_add_co_ci_u32 s38, s35, s27
	s_mov_b64 s[26:27], 0xffffffff
	v_mul_u64_e32 v[8:9], s[38:39], v[8:9]
	s_and_b64 s[26:27], s[2:3], s[26:27]
	s_delay_alu instid0(SALU_CYCLE_1) | instskip(SKIP_1) | instid1(VALU_DEP_3)
	v_mul_u64_e32 v[14:15], s[26:27], v[12:13]
	v_mul_u64_e32 v[12:13], s[38:39], v[12:13]
	v_add_nc_u64_e32 v[8:9], v[16:17], v[8:9]
	s_delay_alu instid0(VALU_DEP_1) | instskip(NEXT) | instid1(VALU_DEP_2)
	v_add_co_u32 v8, vcc_lo, v8, v14
	v_add_co_ci_u32_e32 v10, vcc_lo, v9, v15, vcc_lo
	s_delay_alu instid0(VALU_DEP_4) | instskip(NEXT) | instid1(VALU_DEP_1)
	v_add_co_ci_u32_e32 v13, vcc_lo, 0, v13, vcc_lo
	v_add_nc_u64_e32 v[8:9], v[10:11], v[12:13]
	s_delay_alu instid0(VALU_DEP_1) | instskip(NEXT) | instid1(VALU_DEP_1)
	v_mul_u64_e32 v[10:11], s[20:21], v[8:9]
	v_sub_nc_u32_e32 v12, v7, v11
	s_delay_alu instid0(VALU_DEP_2) | instskip(NEXT) | instid1(VALU_DEP_1)
	v_sub_co_u32 v6, vcc_lo, v6, v10
	v_sub_co_ci_u32_e64 v11, null, v7, v11, vcc_lo
	s_delay_alu instid0(VALU_DEP_3) | instskip(NEXT) | instid1(VALU_DEP_3)
	v_subrev_co_ci_u32_e64 v10, null, s21, v12, vcc_lo
	v_sub_co_u32 v14, s2, v6, s20
	v_cmp_le_u32_e32 vcc_lo, s20, v6
	s_delay_alu instid0(VALU_DEP_3) | instskip(NEXT) | instid1(VALU_DEP_3)
	v_subrev_co_ci_u32_e64 v10, null, 0, v10, s2
	v_cmp_le_u32_e64 s2, s20, v14
	v_add_nc_u64_e32 v[12:13], 2, v[8:9]
	v_cndmask_b32_e64 v16, 0, -1, vcc_lo
	s_delay_alu instid0(VALU_DEP_4) | instskip(SKIP_3) | instid1(VALU_DEP_1)
	v_cmp_eq_u32_e32 vcc_lo, s21, v10
	v_add_nc_u64_e32 v[6:7], 1, v[8:9]
	v_cndmask_b32_e64 v14, 0, -1, s2
	v_cmp_le_u32_e64 s2, s21, v10
	v_cndmask_b32_e64 v15, 0, -1, s2
	v_cmp_eq_u32_e64 s2, s21, v11
	s_delay_alu instid0(VALU_DEP_2) | instskip(SKIP_2) | instid1(VALU_DEP_3)
	v_cndmask_b32_e32 v10, v15, v14, vcc_lo
	v_cmp_le_u32_e32 vcc_lo, s21, v11
	v_cndmask_b32_e64 v14, 0, -1, vcc_lo
	v_cmp_ne_u32_e32 vcc_lo, 0, v10
	s_delay_alu instid0(VALU_DEP_2) | instskip(SKIP_1) | instid1(VALU_DEP_2)
	v_cndmask_b32_e64 v10, v14, v16, s2
	v_dual_cndmask_b32 v6, v6, v12 :: v_dual_cndmask_b32 v7, v7, v13
                                        ; implicit-def: $vgpr12
	v_cmp_ne_u32_e32 vcc_lo, 0, v10
	s_delay_alu instid0(VALU_DEP_2)
	v_dual_cndmask_b32 v8, v8, v6 :: v_dual_cndmask_b32 v9, v9, v7
                                        ; implicit-def: $vgpr6_vgpr7
.LBB2_19:
	s_and_not1_saveexec_b32 s2, s31
	s_cbranch_execz .LBB2_21
; %bb.20:
	v_rcp_iflag_f32_e32 v7, v12
	s_sub_co_i32 s26, 0, s20
	v_nop
	s_delay_alu instid0(TRANS32_DEP_1) | instskip(NEXT) | instid1(VALU_DEP_1)
	v_mul_f32_e32 v7, 0x4f7ffffe, v7
	v_cvt_u32_f32_e32 v7, v7
	s_delay_alu instid0(VALU_DEP_1) | instskip(NEXT) | instid1(VALU_DEP_1)
	v_mul_lo_u32 v8, s26, v7
	v_mul_hi_u32 v8, v7, v8
	s_delay_alu instid0(VALU_DEP_1) | instskip(NEXT) | instid1(VALU_DEP_1)
	v_add_nc_u32_e32 v7, v7, v8
	v_mul_hi_u32 v7, v6, v7
	s_delay_alu instid0(VALU_DEP_1) | instskip(NEXT) | instid1(VALU_DEP_1)
	v_mul_lo_u32 v8, v7, s20
	v_dual_sub_nc_u32 v6, v6, v8 :: v_dual_add_nc_u32 v8, 1, v7
	s_delay_alu instid0(VALU_DEP_1) | instskip(SKIP_1) | instid1(VALU_DEP_2)
	v_subrev_nc_u32_e32 v9, s20, v6
	v_cmp_le_u32_e32 vcc_lo, s20, v6
	v_dual_cndmask_b32 v6, v6, v9 :: v_dual_mov_b32 v9, 0
	s_delay_alu instid0(VALU_DEP_4) | instskip(NEXT) | instid1(VALU_DEP_2)
	v_cndmask_b32_e32 v7, v7, v8, vcc_lo
	v_cmp_le_u32_e32 vcc_lo, s20, v6
	s_delay_alu instid0(VALU_DEP_2) | instskip(NEXT) | instid1(VALU_DEP_1)
	v_add_nc_u32_e32 v8, 1, v7
	v_cndmask_b32_e32 v8, v7, v8, vcc_lo
.LBB2_21:
	s_or_b32 exec_lo, exec_lo, s2
	s_delay_alu instid0(VALU_DEP_1) | instskip(SKIP_1) | instid1(VALU_DEP_1)
	v_dual_mov_b32 v10, 0 :: v_dual_bitop2_b32 v11, s17, v9 bitop3:0x54
                                        ; implicit-def: $vgpr6_vgpr7
	s_mov_b32 s2, exec_lo
	v_cmpx_ne_u64_e32 0, v[10:11]
	s_xor_b32 s26, exec_lo, s2
	s_cbranch_execz .LBB2_23
; %bb.22:
	s_cvt_f32_u32 s2, s16
	s_cvt_f32_u32 s27, s17
	s_sub_nc_u64 s[34:35], 0, s[16:17]
	s_mov_b32 s39, 0
	v_dual_mov_b32 v6, v8 :: v_dual_mov_b32 v7, v10
	s_fmamk_f32 s2, s27, 0x4f800000, s2
	v_dual_mov_b32 v12, v9 :: v_dual_mov_b32 v13, v10
	v_dual_mov_b32 v17, v10 :: v_dual_mov_b32 v11, v10
	s_delay_alu instid0(SALU_CYCLE_1) | instskip(NEXT) | instid1(TRANS32_DEP_1)
	v_s_rcp_f32 s2, s2
	s_mul_f32 s2, s2, 0x5f7ffffc
	s_delay_alu instid0(SALU_CYCLE_3) | instskip(NEXT) | instid1(SALU_CYCLE_3)
	s_mul_f32 s27, s2, 0x2f800000
	s_trunc_f32 s27, s27
	s_delay_alu instid0(SALU_CYCLE_3) | instskip(SKIP_1) | instid1(SALU_CYCLE_2)
	s_fmamk_f32 s2, s27, 0xcf800000, s2
	s_cvt_u32_f32 s31, s27
	s_cvt_u32_f32 s30, s2
	s_delay_alu instid0(SALU_CYCLE_3) | instskip(NEXT) | instid1(SALU_CYCLE_1)
	s_mul_u64 s[36:37], s[34:35], s[30:31]
	s_mul_hi_u32 s41, s30, s37
	s_mul_i32 s40, s30, s37
	s_mul_hi_u32 s38, s30, s36
	s_mul_i32 s27, s31, s36
	s_add_nc_u64 s[40:41], s[38:39], s[40:41]
	s_mul_hi_u32 s2, s31, s36
	s_mul_hi_u32 s29, s31, s37
	s_add_co_u32 s27, s40, s27
	s_add_co_ci_u32 s38, s41, s2
	s_mul_i32 s36, s31, s37
	s_add_co_ci_u32 s37, s29, 0
	s_delay_alu instid0(SALU_CYCLE_1) | instskip(NEXT) | instid1(SALU_CYCLE_1)
	s_add_nc_u64 s[36:37], s[38:39], s[36:37]
	s_add_co_u32 s30, s30, s36
	s_cselect_b32 s2, -1, 0
	s_delay_alu instid0(SALU_CYCLE_1) | instskip(SKIP_1) | instid1(SALU_CYCLE_1)
	s_cmp_lg_u32 s2, 0
	s_add_co_ci_u32 s31, s31, s37
	s_mul_u64 s[34:35], s[34:35], s[30:31]
	s_delay_alu instid0(SALU_CYCLE_1)
	s_mul_hi_u32 s37, s30, s35
	s_mul_i32 s36, s30, s35
	s_mul_hi_u32 s38, s30, s34
	s_mul_i32 s27, s31, s34
	s_add_nc_u64 s[36:37], s[38:39], s[36:37]
	s_mul_hi_u32 s2, s31, s34
	s_mul_hi_u32 s29, s31, s35
	s_add_co_u32 s27, s36, s27
	s_add_co_ci_u32 s38, s37, s2
	s_mul_i32 s34, s31, s35
	s_add_co_ci_u32 s35, s29, 0
	s_delay_alu instid0(SALU_CYCLE_1) | instskip(NEXT) | instid1(SALU_CYCLE_1)
	s_add_nc_u64 s[34:35], s[38:39], s[34:35]
	s_add_co_u32 s2, s30, s34
	s_cselect_b32 s27, -1, 0
	v_nop
	v_mul_hi_u32 v16, v8, s2
	s_cmp_lg_u32 s27, 0
	s_add_co_ci_u32 s38, s31, s35
	s_mov_b64 s[30:31], 0xffffffff
	v_mul_u64_e32 v[6:7], s[38:39], v[6:7]
	s_and_b64 s[30:31], s[2:3], s[30:31]
	s_delay_alu instid0(SALU_CYCLE_1) | instskip(SKIP_1) | instid1(VALU_DEP_3)
	v_mul_u64_e32 v[14:15], s[30:31], v[12:13]
	v_mul_u64_e32 v[12:13], s[38:39], v[12:13]
	v_add_nc_u64_e32 v[6:7], v[16:17], v[6:7]
	s_delay_alu instid0(VALU_DEP_1) | instskip(NEXT) | instid1(VALU_DEP_2)
	v_add_co_u32 v6, vcc_lo, v6, v14
	v_add_co_ci_u32_e32 v10, vcc_lo, v7, v15, vcc_lo
	s_delay_alu instid0(VALU_DEP_4) | instskip(NEXT) | instid1(VALU_DEP_1)
	v_add_co_ci_u32_e32 v13, vcc_lo, 0, v13, vcc_lo
	v_add_nc_u64_e32 v[6:7], v[10:11], v[12:13]
	s_delay_alu instid0(VALU_DEP_1) | instskip(NEXT) | instid1(VALU_DEP_1)
	v_mul_u64_e32 v[6:7], s[16:17], v[6:7]
	v_sub_nc_u32_e32 v10, v9, v7
	s_delay_alu instid0(VALU_DEP_2) | instskip(NEXT) | instid1(VALU_DEP_1)
	v_sub_co_u32 v6, vcc_lo, v8, v6
	v_sub_co_ci_u32_e64 v7, null, v9, v7, vcc_lo
	s_delay_alu instid0(VALU_DEP_3) | instskip(NEXT) | instid1(VALU_DEP_3)
	v_subrev_co_ci_u32_e64 v8, null, s17, v10, vcc_lo
	v_sub_co_u32 v9, vcc_lo, v6, s16
	v_cmp_le_u32_e64 s2, s16, v6
	s_delay_alu instid0(VALU_DEP_3) | instskip(SKIP_1) | instid1(VALU_DEP_3)
	v_subrev_co_ci_u32_e64 v10, null, 0, v8, vcc_lo
	v_subrev_co_ci_u32_e64 v8, null, s17, v8, vcc_lo
	v_cndmask_b32_e64 v11, 0, -1, s2
	v_cmp_le_u32_e64 s2, s16, v9
	v_cmp_le_u32_e32 vcc_lo, s17, v7
	s_delay_alu instid0(VALU_DEP_2) | instskip(SKIP_3) | instid1(VALU_DEP_3)
	v_cndmask_b32_e64 v12, 0, -1, s2
	v_cmp_le_u32_e64 s2, s17, v10
	v_cndmask_b32_e64 v14, 0, -1, vcc_lo
	v_cmp_eq_u32_e32 vcc_lo, s17, v10
	v_cndmask_b32_e64 v13, 0, -1, s2
	s_delay_alu instid0(VALU_DEP_1) | instskip(SKIP_1) | instid1(VALU_DEP_1)
	v_cndmask_b32_e32 v10, v13, v12, vcc_lo
	v_sub_co_u32 v12, vcc_lo, v9, s16
	v_subrev_co_ci_u32_e64 v8, null, 0, v8, vcc_lo
	v_cmp_eq_u32_e32 vcc_lo, s17, v7
	v_cndmask_b32_e32 v7, v14, v11, vcc_lo
	v_cmp_ne_u32_e32 vcc_lo, 0, v10
	v_cndmask_b32_e32 v8, v9, v12, vcc_lo
	s_delay_alu instid0(VALU_DEP_3) | instskip(NEXT) | instid1(VALU_DEP_2)
	v_cmp_ne_u32_e32 vcc_lo, 0, v7
	v_cndmask_b32_e32 v6, v6, v8, vcc_lo
                                        ; implicit-def: $vgpr8_vgpr9
.LBB2_23:
	s_and_not1_saveexec_b32 s2, s26
	s_cbranch_execz .LBB2_25
; %bb.24:
	v_cvt_f32_u32_e32 v6, s16
	s_sub_co_i32 s26, 0, s16
	s_delay_alu instid0(VALU_DEP_1) | instskip(SKIP_1) | instid1(TRANS32_DEP_1)
	v_rcp_iflag_f32_e32 v6, v6
	v_nop
	v_mul_f32_e32 v6, 0x4f7ffffe, v6
	s_delay_alu instid0(VALU_DEP_1) | instskip(NEXT) | instid1(VALU_DEP_1)
	v_cvt_u32_f32_e32 v6, v6
	v_mul_lo_u32 v7, s26, v6
	s_delay_alu instid0(VALU_DEP_1) | instskip(NEXT) | instid1(VALU_DEP_1)
	v_mul_hi_u32 v7, v6, v7
	v_add_nc_u32_e32 v6, v6, v7
	s_delay_alu instid0(VALU_DEP_1) | instskip(NEXT) | instid1(VALU_DEP_1)
	v_mul_hi_u32 v6, v8, v6
	v_mul_lo_u32 v6, v6, s16
	s_delay_alu instid0(VALU_DEP_1) | instskip(NEXT) | instid1(VALU_DEP_1)
	v_sub_nc_u32_e32 v6, v8, v6
	v_subrev_nc_u32_e32 v7, s16, v6
	v_cmp_le_u32_e32 vcc_lo, s16, v6
	s_delay_alu instid0(VALU_DEP_2) | instskip(NEXT) | instid1(VALU_DEP_1)
	v_cndmask_b32_e32 v6, v6, v7, vcc_lo
	v_subrev_nc_u32_e32 v7, s16, v6
	v_cmp_le_u32_e32 vcc_lo, s16, v6
	s_delay_alu instid0(VALU_DEP_2)
	v_cndmask_b32_e32 v6, v6, v7, vcc_lo
.LBB2_25:
	s_or_b32 exec_lo, exec_lo, s2
	v_dual_mov_b32 v8, 0 :: v_dual_bitop2_b32 v9, s19, v5 bitop3:0x54
                                        ; implicit-def: $vgpr10_vgpr11
	s_mov_b32 s2, exec_lo
	s_delay_alu instid0(VALU_DEP_1)
	v_cmpx_ne_u64_e32 0, v[8:9]
	s_xor_b32 s26, exec_lo, s2
	s_cbranch_execz .LBB2_27
; %bb.26:
	s_fmamk_f32 s2, s28, 0x4f800000, s3
	s_mov_b32 s31, 0
	v_dual_mov_b32 v10, v4 :: v_dual_mov_b32 v11, v8
	s_delay_alu instid0(SALU_CYCLE_1) | instskip(SKIP_2) | instid1(TRANS32_DEP_1)
	v_s_rcp_f32 s2, s2
	v_dual_mov_b32 v12, v5 :: v_dual_mov_b32 v13, v8
	v_dual_mov_b32 v17, v8 :: v_dual_mov_b32 v9, v8
	s_mul_f32 s2, s2, 0x5f7ffffc
	s_delay_alu instid0(SALU_CYCLE_3) | instskip(NEXT) | instid1(SALU_CYCLE_3)
	s_mul_f32 s3, s2, 0x2f800000
	s_trunc_f32 s3, s3
	s_delay_alu instid0(SALU_CYCLE_3) | instskip(SKIP_1) | instid1(SALU_CYCLE_2)
	s_fmamk_f32 s2, s3, 0xcf800000, s2
	s_cvt_u32_f32 s3, s3
	s_cvt_u32_f32 s2, s2
	s_delay_alu instid0(SALU_CYCLE_3) | instskip(NEXT) | instid1(SALU_CYCLE_1)
	s_mul_u64 s[28:29], s[24:25], s[2:3]
	s_mul_hi_u32 s35, s2, s29
	s_mul_i32 s34, s2, s29
	s_mul_hi_u32 s30, s2, s28
	s_mul_i32 s33, s3, s28
	s_add_nc_u64 s[34:35], s[30:31], s[34:35]
	s_mul_hi_u32 s27, s3, s28
	s_mul_hi_u32 s36, s3, s29
	s_mul_i32 s28, s3, s29
	s_add_co_u32 s29, s34, s33
	s_add_co_ci_u32 s30, s35, s27
	s_add_co_ci_u32 s29, s36, 0
	s_delay_alu instid0(SALU_CYCLE_1) | instskip(NEXT) | instid1(SALU_CYCLE_1)
	s_add_nc_u64 s[28:29], s[30:31], s[28:29]
	s_add_co_u32 s2, s2, s28
	s_cselect_b32 s27, -1, 0
	s_delay_alu instid0(SALU_CYCLE_1) | instskip(SKIP_1) | instid1(SALU_CYCLE_1)
	s_cmp_lg_u32 s27, 0
	s_add_co_ci_u32 s3, s3, s29
	s_mul_u64 s[24:25], s[24:25], s[2:3]
	s_delay_alu instid0(SALU_CYCLE_1)
	s_mul_hi_u32 s29, s2, s25
	s_mul_i32 s28, s2, s25
	s_mul_hi_u32 s30, s2, s24
	s_mul_i32 s33, s3, s24
	s_add_nc_u64 s[28:29], s[30:31], s[28:29]
	s_mul_hi_u32 s27, s3, s24
	s_mul_hi_u32 s34, s3, s25
	s_mul_i32 s24, s3, s25
	s_add_co_u32 s25, s28, s33
	s_add_co_ci_u32 s30, s29, s27
	s_add_co_ci_u32 s25, s34, 0
	s_delay_alu instid0(SALU_CYCLE_1) | instskip(NEXT) | instid1(SALU_CYCLE_1)
	s_add_nc_u64 s[24:25], s[30:31], s[24:25]
	s_add_co_u32 s2, s2, s24
	s_cselect_b32 s24, -1, 0
	v_mul_hi_u32 v16, v4, s2
	s_cmp_lg_u32 s24, 0
	s_add_co_ci_u32 s30, s3, s25
	s_mov_b64 s[24:25], 0xffffffff
	v_mul_u64_e32 v[10:11], s[30:31], v[10:11]
	s_and_b64 s[24:25], s[2:3], s[24:25]
	s_delay_alu instid0(SALU_CYCLE_1) | instskip(SKIP_1) | instid1(VALU_DEP_3)
	v_mul_u64_e32 v[14:15], s[24:25], v[12:13]
	v_mul_u64_e32 v[12:13], s[30:31], v[12:13]
	v_add_nc_u64_e32 v[10:11], v[16:17], v[10:11]
	s_delay_alu instid0(VALU_DEP_1) | instskip(NEXT) | instid1(VALU_DEP_2)
	v_add_co_u32 v3, vcc_lo, v10, v14
	v_add_co_ci_u32_e32 v8, vcc_lo, v11, v15, vcc_lo
	s_delay_alu instid0(VALU_DEP_4) | instskip(NEXT) | instid1(VALU_DEP_1)
	v_add_co_ci_u32_e32 v13, vcc_lo, 0, v13, vcc_lo
	v_add_nc_u64_e32 v[8:9], v[8:9], v[12:13]
	s_delay_alu instid0(VALU_DEP_1) | instskip(NEXT) | instid1(VALU_DEP_1)
	v_mul_u64_e32 v[8:9], s[18:19], v[8:9]
	v_sub_nc_u32_e32 v3, v5, v9
	s_delay_alu instid0(VALU_DEP_2) | instskip(NEXT) | instid1(VALU_DEP_1)
	v_sub_co_u32 v7, vcc_lo, v4, v8
	v_sub_co_ci_u32_e64 v5, null, v5, v9, vcc_lo
	s_delay_alu instid0(VALU_DEP_3) | instskip(NEXT) | instid1(VALU_DEP_3)
	v_subrev_co_ci_u32_e64 v3, null, s19, v3, vcc_lo
	v_sub_co_u32 v8, vcc_lo, v7, s18
	v_cmp_le_u32_e64 s2, s18, v7
	s_delay_alu instid0(VALU_DEP_3) | instskip(SKIP_1) | instid1(VALU_DEP_3)
	v_subrev_co_ci_u32_e64 v9, null, 0, v3, vcc_lo
	v_subrev_co_ci_u32_e64 v3, null, s19, v3, vcc_lo
	v_cndmask_b32_e64 v10, 0, -1, s2
	v_cmp_le_u32_e64 s2, s18, v8
	v_cmp_le_u32_e32 vcc_lo, s19, v5
	s_delay_alu instid0(VALU_DEP_2) | instskip(SKIP_3) | instid1(VALU_DEP_3)
	v_cndmask_b32_e64 v11, 0, -1, s2
	v_cmp_le_u32_e64 s2, s19, v9
	v_cndmask_b32_e64 v13, 0, -1, vcc_lo
	v_cmp_eq_u32_e32 vcc_lo, s19, v9
	v_cndmask_b32_e64 v12, 0, -1, s2
	s_delay_alu instid0(VALU_DEP_1) | instskip(SKIP_1) | instid1(VALU_DEP_1)
	v_cndmask_b32_e32 v9, v12, v11, vcc_lo
	v_sub_co_u32 v11, vcc_lo, v8, s18
	v_subrev_co_ci_u32_e64 v3, null, 0, v3, vcc_lo
	v_cmp_eq_u32_e32 vcc_lo, s19, v5
	v_cndmask_b32_e32 v3, v13, v10, vcc_lo
	v_cmp_ne_u32_e32 vcc_lo, 0, v9
	v_cndmask_b32_e32 v5, v8, v11, vcc_lo
	s_delay_alu instid0(VALU_DEP_3) | instskip(NEXT) | instid1(VALU_DEP_2)
	v_cmp_ne_u32_e32 vcc_lo, 0, v3
                                        ; implicit-def: $vgpr3
	v_cndmask_b32_e32 v10, v7, v5, vcc_lo
.LBB2_27:
	s_and_not1_saveexec_b32 s2, s26
	s_cbranch_execz .LBB2_29
; %bb.28:
	v_rcp_iflag_f32_e32 v3, v3
	s_sub_co_i32 s3, 0, s18
	v_nop
	s_delay_alu instid0(TRANS32_DEP_1) | instskip(NEXT) | instid1(VALU_DEP_1)
	v_mul_f32_e32 v3, 0x4f7ffffe, v3
	v_cvt_u32_f32_e32 v3, v3
	s_delay_alu instid0(VALU_DEP_1) | instskip(NEXT) | instid1(VALU_DEP_1)
	v_mul_lo_u32 v5, s3, v3
	v_mul_hi_u32 v5, v3, v5
	s_delay_alu instid0(VALU_DEP_1) | instskip(NEXT) | instid1(VALU_DEP_1)
	v_add_nc_u32_e32 v3, v3, v5
	v_mul_hi_u32 v3, v4, v3
	s_delay_alu instid0(VALU_DEP_1) | instskip(NEXT) | instid1(VALU_DEP_1)
	v_mul_lo_u32 v3, v3, s18
	v_sub_nc_u32_e32 v3, v4, v3
	s_delay_alu instid0(VALU_DEP_1) | instskip(SKIP_1) | instid1(VALU_DEP_2)
	v_subrev_nc_u32_e32 v5, s18, v3
	v_cmp_le_u32_e32 vcc_lo, s18, v3
	v_cndmask_b32_e32 v3, v3, v5, vcc_lo
	s_delay_alu instid0(VALU_DEP_1) | instskip(SKIP_1) | instid1(VALU_DEP_2)
	v_subrev_nc_u32_e32 v5, s18, v3
	v_cmp_le_u32_e32 vcc_lo, s18, v3
	v_cndmask_b32_e32 v10, v3, v5, vcc_lo
.LBB2_29:
	s_or_b32 exec_lo, exec_lo, s2
	s_load_b96 s[0:2], s[0:1], 0x50
	v_mul_lo_u32 v3, v4, s20
	s_delay_alu instid0(VALU_DEP_2) | instskip(SKIP_1) | instid1(VALU_DEP_3)
	v_cvt_f32_i32_e32 v4, v10
	v_cvt_f32_i32_e32 v5, v6
	v_sub_nc_u32_e32 v3, v0, v3
	v_lshl_add_u64 v[0:1], v[0:1], 1, s[22:23]
	s_wait_kmcnt 0x0
	v_mul_f32_e32 v6, s1, v4
	s_delay_alu instid0(VALU_DEP_3) | instskip(SKIP_2) | instid1(SALU_CYCLE_1)
	v_cvt_f32_i32_e32 v3, v3
	v_mul_f32_e32 v5, s0, v5
	s_mul_u64 s[0:1], s[14:15], s[12:13]
	s_mul_u64 s[0:1], s[0:1], s[10:11]
	s_delay_alu instid0(VALU_DEP_2) | instskip(SKIP_1) | instid1(SALU_CYCLE_1)
	v_mul_f32_e32 v3, s2, v3
	s_mul_u64 s[2:3], s[20:21], s[18:19]
	s_mul_u64 s[2:3], s[2:3], s[16:17]
	s_delay_alu instid0(VALU_DEP_1) | instskip(SKIP_1) | instid1(SALU_CYCLE_1)
	v_floor_f32_e32 v3, v3
	s_mul_u64 s[2:3], s[2:3], s[8:9]
	s_lshl_b64 s[2:3], s[2:3], 1
	s_delay_alu instid0(VALU_DEP_1) | instskip(NEXT) | instid1(VALU_DEP_1)
	v_cvt_i32_f32_e32 v3, v3
	v_add_min_i32_e64 v4, s14, -1, v3
	v_floor_f32_e32 v3, v6
	v_floor_f32_e32 v6, v5
	s_delay_alu instid0(VALU_DEP_2) | instskip(NEXT) | instid1(VALU_DEP_2)
	v_cvt_i32_f32_e32 v3, v3
	v_cvt_i32_f32_e32 v7, v6
	s_delay_alu instid0(VALU_DEP_2) | instskip(SKIP_1) | instid1(VALU_DEP_3)
	v_add_min_i32_e64 v6, s12, -1, v3
	v_ashrrev_i32_e32 v5, 31, v4
	v_add_min_i32_e64 v3, s10, -1, v7
	v_ashrrev_i32_e32 v8, 31, v2
	s_delay_alu instid0(VALU_DEP_4) | instskip(NEXT) | instid1(VALU_DEP_4)
	v_ashrrev_i32_e32 v7, 31, v6
	v_mad_nc_u64_u32 v[4:5], v2, s0, v[4:5]
	s_delay_alu instid0(VALU_DEP_2) | instskip(NEXT) | instid1(VALU_DEP_2)
	v_mad_nc_u64_u32 v[6:7], s12, v3, v[6:7]
	v_mad_u32 v5, v8, s0, v5
	s_delay_alu instid0(VALU_DEP_2) | instskip(NEXT) | instid1(VALU_DEP_2)
	v_mad_u32 v7, s13, v3, v7
	v_mad_u32 v5, v2, s1, v5
	v_ashrrev_i32_e32 v2, 31, v3
	s_mul_u64 s[0:1], s[0:1], s[8:9]
	s_mov_b64 s[8:9], 0
	s_delay_alu instid0(VALU_DEP_1) | instskip(NEXT) | instid1(VALU_DEP_3)
	v_mad_u32 v7, s12, v2, v7
	v_mad_nc_u64_u32 v[2:3], v6, s14, v[4:5]
	s_delay_alu instid0(VALU_DEP_1) | instskip(NEXT) | instid1(VALU_DEP_1)
	v_mad_u32 v3, v7, s14, v3
	v_mad_u32 v3, v6, s15, v3
.LBB2_30:                               ; =>This Inner Loop Header: Depth=1
	s_delay_alu instid0(VALU_DEP_1)
	v_lshl_add_u64 v[4:5], v[2:3], 1, s[4:5]
	s_add_nc_u64 s[8:9], s[8:9], 1
	v_add_nc_u64_e32 v[2:3], s[0:1], v[2:3]
	v_cmp_gt_u64_e64 s10, s[6:7], s[8:9]
	global_load_u16 v4, v[4:5], off
	s_and_b32 vcc_lo, exec_lo, s10
	s_wait_loadcnt 0x0
	global_store_b16 v[0:1], v4, off
	s_wait_xcnt 0x0
	v_add_nc_u64_e32 v[0:1], s[2:3], v[0:1]
	s_cbranch_vccnz .LBB2_30
.LBB2_31:
	s_endpgm
	.section	.rodata,"a",@progbits
	.p2align	6, 0x0
	.amdhsa_kernel _ZN2at6native12_GLOBAL__N_128upsample_nearest3d_out_frameIN3c104HalfEXadL_ZNS0_37nearest_neighbor_compute_source_indexEfiiEEEEvPKT_mmmmmmmmPS5_fff
		.amdhsa_group_segment_fixed_size 0
		.amdhsa_private_segment_fixed_size 0
		.amdhsa_kernarg_size 352
		.amdhsa_user_sgpr_count 2
		.amdhsa_user_sgpr_dispatch_ptr 0
		.amdhsa_user_sgpr_queue_ptr 0
		.amdhsa_user_sgpr_kernarg_segment_ptr 1
		.amdhsa_user_sgpr_dispatch_id 0
		.amdhsa_user_sgpr_kernarg_preload_length 0
		.amdhsa_user_sgpr_kernarg_preload_offset 0
		.amdhsa_user_sgpr_private_segment_size 0
		.amdhsa_wavefront_size32 1
		.amdhsa_uses_dynamic_stack 0
		.amdhsa_enable_private_segment 0
		.amdhsa_system_sgpr_workgroup_id_x 1
		.amdhsa_system_sgpr_workgroup_id_y 0
		.amdhsa_system_sgpr_workgroup_id_z 0
		.amdhsa_system_sgpr_workgroup_info 0
		.amdhsa_system_vgpr_workitem_id 0
		.amdhsa_next_free_vgpr 18
		.amdhsa_next_free_sgpr 43
		.amdhsa_named_barrier_count 0
		.amdhsa_reserve_vcc 1
		.amdhsa_float_round_mode_32 0
		.amdhsa_float_round_mode_16_64 0
		.amdhsa_float_denorm_mode_32 3
		.amdhsa_float_denorm_mode_16_64 3
		.amdhsa_fp16_overflow 0
		.amdhsa_memory_ordered 1
		.amdhsa_forward_progress 1
		.amdhsa_inst_pref_size 43
		.amdhsa_round_robin_scheduling 0
		.amdhsa_exception_fp_ieee_invalid_op 0
		.amdhsa_exception_fp_denorm_src 0
		.amdhsa_exception_fp_ieee_div_zero 0
		.amdhsa_exception_fp_ieee_overflow 0
		.amdhsa_exception_fp_ieee_underflow 0
		.amdhsa_exception_fp_ieee_inexact 0
		.amdhsa_exception_int_div_zero 0
	.end_amdhsa_kernel
	.section	.text._ZN2at6native12_GLOBAL__N_128upsample_nearest3d_out_frameIN3c104HalfEXadL_ZNS0_37nearest_neighbor_compute_source_indexEfiiEEEEvPKT_mmmmmmmmPS5_fff,"axG",@progbits,_ZN2at6native12_GLOBAL__N_128upsample_nearest3d_out_frameIN3c104HalfEXadL_ZNS0_37nearest_neighbor_compute_source_indexEfiiEEEEvPKT_mmmmmmmmPS5_fff,comdat
.Lfunc_end2:
	.size	_ZN2at6native12_GLOBAL__N_128upsample_nearest3d_out_frameIN3c104HalfEXadL_ZNS0_37nearest_neighbor_compute_source_indexEfiiEEEEvPKT_mmmmmmmmPS5_fff, .Lfunc_end2-_ZN2at6native12_GLOBAL__N_128upsample_nearest3d_out_frameIN3c104HalfEXadL_ZNS0_37nearest_neighbor_compute_source_indexEfiiEEEEvPKT_mmmmmmmmPS5_fff
                                        ; -- End function
	.set _ZN2at6native12_GLOBAL__N_128upsample_nearest3d_out_frameIN3c104HalfEXadL_ZNS0_37nearest_neighbor_compute_source_indexEfiiEEEEvPKT_mmmmmmmmPS5_fff.num_vgpr, 18
	.set _ZN2at6native12_GLOBAL__N_128upsample_nearest3d_out_frameIN3c104HalfEXadL_ZNS0_37nearest_neighbor_compute_source_indexEfiiEEEEvPKT_mmmmmmmmPS5_fff.num_agpr, 0
	.set _ZN2at6native12_GLOBAL__N_128upsample_nearest3d_out_frameIN3c104HalfEXadL_ZNS0_37nearest_neighbor_compute_source_indexEfiiEEEEvPKT_mmmmmmmmPS5_fff.numbered_sgpr, 43
	.set _ZN2at6native12_GLOBAL__N_128upsample_nearest3d_out_frameIN3c104HalfEXadL_ZNS0_37nearest_neighbor_compute_source_indexEfiiEEEEvPKT_mmmmmmmmPS5_fff.num_named_barrier, 0
	.set _ZN2at6native12_GLOBAL__N_128upsample_nearest3d_out_frameIN3c104HalfEXadL_ZNS0_37nearest_neighbor_compute_source_indexEfiiEEEEvPKT_mmmmmmmmPS5_fff.private_seg_size, 0
	.set _ZN2at6native12_GLOBAL__N_128upsample_nearest3d_out_frameIN3c104HalfEXadL_ZNS0_37nearest_neighbor_compute_source_indexEfiiEEEEvPKT_mmmmmmmmPS5_fff.uses_vcc, 1
	.set _ZN2at6native12_GLOBAL__N_128upsample_nearest3d_out_frameIN3c104HalfEXadL_ZNS0_37nearest_neighbor_compute_source_indexEfiiEEEEvPKT_mmmmmmmmPS5_fff.uses_flat_scratch, 0
	.set _ZN2at6native12_GLOBAL__N_128upsample_nearest3d_out_frameIN3c104HalfEXadL_ZNS0_37nearest_neighbor_compute_source_indexEfiiEEEEvPKT_mmmmmmmmPS5_fff.has_dyn_sized_stack, 0
	.set _ZN2at6native12_GLOBAL__N_128upsample_nearest3d_out_frameIN3c104HalfEXadL_ZNS0_37nearest_neighbor_compute_source_indexEfiiEEEEvPKT_mmmmmmmmPS5_fff.has_recursion, 0
	.set _ZN2at6native12_GLOBAL__N_128upsample_nearest3d_out_frameIN3c104HalfEXadL_ZNS0_37nearest_neighbor_compute_source_indexEfiiEEEEvPKT_mmmmmmmmPS5_fff.has_indirect_call, 0
	.section	.AMDGPU.csdata,"",@progbits
; Kernel info:
; codeLenInByte = 5392
; TotalNumSgprs: 45
; NumVgprs: 18
; ScratchSize: 0
; MemoryBound: 0
; FloatMode: 240
; IeeeMode: 1
; LDSByteSize: 0 bytes/workgroup (compile time only)
; SGPRBlocks: 0
; VGPRBlocks: 1
; NumSGPRsForWavesPerEU: 45
; NumVGPRsForWavesPerEU: 18
; NamedBarCnt: 0
; Occupancy: 16
; WaveLimiterHint : 0
; COMPUTE_PGM_RSRC2:SCRATCH_EN: 0
; COMPUTE_PGM_RSRC2:USER_SGPR: 2
; COMPUTE_PGM_RSRC2:TRAP_HANDLER: 0
; COMPUTE_PGM_RSRC2:TGID_X_EN: 1
; COMPUTE_PGM_RSRC2:TGID_Y_EN: 0
; COMPUTE_PGM_RSRC2:TGID_Z_EN: 0
; COMPUTE_PGM_RSRC2:TIDIG_COMP_CNT: 0
	.section	.text._ZN2at6native12_GLOBAL__N_128upsample_nearest3d_out_frameIN3c108BFloat16EXadL_ZNS0_37nearest_neighbor_compute_source_indexEfiiEEEEvPKT_mmmmmmmmPS5_fff,"axG",@progbits,_ZN2at6native12_GLOBAL__N_128upsample_nearest3d_out_frameIN3c108BFloat16EXadL_ZNS0_37nearest_neighbor_compute_source_indexEfiiEEEEvPKT_mmmmmmmmPS5_fff,comdat
	.globl	_ZN2at6native12_GLOBAL__N_128upsample_nearest3d_out_frameIN3c108BFloat16EXadL_ZNS0_37nearest_neighbor_compute_source_indexEfiiEEEEvPKT_mmmmmmmmPS5_fff ; -- Begin function _ZN2at6native12_GLOBAL__N_128upsample_nearest3d_out_frameIN3c108BFloat16EXadL_ZNS0_37nearest_neighbor_compute_source_indexEfiiEEEEvPKT_mmmmmmmmPS5_fff
	.p2align	8
	.type	_ZN2at6native12_GLOBAL__N_128upsample_nearest3d_out_frameIN3c108BFloat16EXadL_ZNS0_37nearest_neighbor_compute_source_indexEfiiEEEEvPKT_mmmmmmmmPS5_fff,@function
_ZN2at6native12_GLOBAL__N_128upsample_nearest3d_out_frameIN3c108BFloat16EXadL_ZNS0_37nearest_neighbor_compute_source_indexEfiiEEEEvPKT_mmmmmmmmPS5_fff: ; @_ZN2at6native12_GLOBAL__N_128upsample_nearest3d_out_frameIN3c108BFloat16EXadL_ZNS0_37nearest_neighbor_compute_source_indexEfiiEEEEvPKT_mmmmmmmmPS5_fff
; %bb.0:
	s_clause 0x2
	s_load_b32 s2, s[0:1], 0x6c
	s_load_b512 s[4:19], s[0:1], 0x0
	s_load_b128 s[20:23], s[0:1], 0x40
	s_bfe_u32 s3, ttmp6, 0x4000c
	v_mov_b32_e32 v2, 0
	s_add_co_i32 s3, s3, 1
	s_and_b32 s24, ttmp6, 15
	s_mul_i32 s3, ttmp9, s3
	s_getreg_b32 s25, hwreg(HW_REG_IB_STS2, 6, 4)
	v_mov_b32_e32 v1, v2
	s_add_co_i32 s24, s24, s3
	s_wait_kmcnt 0x0
	s_and_b32 s2, s2, 0xffff
	s_cmp_eq_u32 s25, 0
	s_cselect_b32 s3, ttmp9, s24
	s_cmp_lg_u64 s[6:7], 0
	v_mad_nc_u64_u32 v[0:1], s2, s3, v[0:1]
	s_mul_u64 s[2:3], s[18:19], s[16:17]
	s_delay_alu instid0(SALU_CYCLE_1) | instskip(NEXT) | instid1(SALU_CYCLE_1)
	s_mul_u64 s[24:25], s[2:3], s[8:9]
	s_mul_u64 s[24:25], s[24:25], s[20:21]
	s_delay_alu instid0(VALU_DEP_1) | instid1(SALU_CYCLE_1)
	v_cmp_gt_u64_e32 vcc_lo, s[24:25], v[0:1]
	s_cselect_b32 s24, -1, 0
	s_delay_alu instid0(SALU_CYCLE_1) | instskip(NEXT) | instid1(SALU_CYCLE_1)
	s_and_b32 s24, vcc_lo, s24
	s_and_saveexec_b32 s25, s24
	s_cbranch_execz .LBB3_31
; %bb.1:
	s_mul_u64 s[24:25], s[2:3], s[20:21]
                                        ; implicit-def: $vgpr4_vgpr5
	s_mov_b32 s2, exec_lo
	v_or_b32_e32 v3, s25, v1
	s_delay_alu instid0(VALU_DEP_1)
	v_cmpx_ne_u64_e32 0, v[2:3]
	s_xor_b32 s3, exec_lo, s2
	s_cbranch_execz .LBB3_3
; %bb.2:
	s_ashr_i32 s26, s25, 31
	s_mov_b32 s39, 0
	s_mov_b32 s27, s26
	v_dual_mov_b32 v7, 0 :: v_dual_ashrrev_i32 v2, 31, v1
	s_add_nc_u64 s[28:29], s[24:25], s[26:27]
	s_delay_alu instid0(SALU_CYCLE_1) | instskip(NEXT) | instid1(VALU_DEP_1)
	s_xor_b64 s[28:29], s[28:29], s[26:27]
	v_mov_b32_e32 v3, v2
	s_cvt_f32_u32 s2, s28
	s_cvt_f32_u32 s25, s29
	s_sub_nc_u64 s[34:35], 0, s[28:29]
	s_delay_alu instid0(VALU_DEP_1) | instskip(NEXT) | instid1(SALU_CYCLE_1)
	v_add_nc_u64_e32 v[4:5], v[0:1], v[2:3]
	s_fmamk_f32 s2, s25, 0x4f800000, s2
	v_mov_b32_e32 v9, v7
	s_delay_alu instid0(SALU_CYCLE_2) | instskip(NEXT) | instid1(VALU_DEP_2)
	v_s_rcp_f32 s2, s2
	v_xor_b32_e32 v6, v4, v2
	s_delay_alu instid0(VALU_DEP_3) | instskip(SKIP_1) | instid1(TRANS32_DEP_1)
	v_dual_mov_b32 v15, v7 :: v_dual_bitop2_b32 v8, v5, v2 bitop3:0x14
	v_xor_b32_e32 v2, s26, v2
	s_mul_f32 s2, s2, 0x5f7ffffc
	s_delay_alu instid0(SALU_CYCLE_3) | instskip(NEXT) | instid1(SALU_CYCLE_3)
	s_mul_f32 s25, s2, 0x2f800000
	s_trunc_f32 s25, s25
	s_delay_alu instid0(SALU_CYCLE_3) | instskip(SKIP_1) | instid1(SALU_CYCLE_2)
	s_fmamk_f32 s2, s25, 0xcf800000, s2
	s_cvt_u32_f32 s31, s25
	s_cvt_u32_f32 s30, s2
	s_delay_alu instid0(SALU_CYCLE_3) | instskip(NEXT) | instid1(SALU_CYCLE_1)
	s_mul_u64 s[36:37], s[34:35], s[30:31]
	s_mul_hi_u32 s41, s30, s37
	s_mul_i32 s40, s30, s37
	s_mul_hi_u32 s38, s30, s36
	s_mul_i32 s25, s31, s36
	s_add_nc_u64 s[40:41], s[38:39], s[40:41]
	s_mul_hi_u32 s2, s31, s36
	s_mul_hi_u32 s27, s31, s37
	s_add_co_u32 s25, s40, s25
	s_add_co_ci_u32 s38, s41, s2
	s_mul_i32 s36, s31, s37
	s_add_co_ci_u32 s37, s27, 0
	s_delay_alu instid0(SALU_CYCLE_1) | instskip(NEXT) | instid1(SALU_CYCLE_1)
	s_add_nc_u64 s[36:37], s[38:39], s[36:37]
	s_add_co_u32 s30, s30, s36
	s_cselect_b32 s2, -1, 0
	s_delay_alu instid0(SALU_CYCLE_1) | instskip(SKIP_1) | instid1(SALU_CYCLE_1)
	s_cmp_lg_u32 s2, 0
	s_add_co_ci_u32 s31, s31, s37
	s_mul_u64 s[34:35], s[34:35], s[30:31]
	s_delay_alu instid0(SALU_CYCLE_1)
	s_mul_hi_u32 s37, s30, s35
	s_mul_i32 s36, s30, s35
	s_mul_hi_u32 s38, s30, s34
	s_mul_i32 s25, s31, s34
	s_add_nc_u64 s[36:37], s[38:39], s[36:37]
	s_mul_hi_u32 s2, s31, s34
	s_mul_hi_u32 s27, s31, s35
	s_add_co_u32 s25, s36, s25
	s_add_co_ci_u32 s38, s37, s2
	s_mul_i32 s34, s31, s35
	s_add_co_ci_u32 s35, s27, 0
	s_delay_alu instid0(SALU_CYCLE_1) | instskip(NEXT) | instid1(SALU_CYCLE_1)
	s_add_nc_u64 s[34:35], s[38:39], s[34:35]
	s_add_co_u32 s2, s30, s34
	s_cselect_b32 s25, -1, 0
	v_mul_hi_u32 v14, v6, s2
	s_cmp_lg_u32 s25, 0
	s_add_co_ci_u32 s38, s31, s35
	s_mov_b64 s[30:31], 0xffffffff
	v_mul_u64_e32 v[10:11], s[38:39], v[6:7]
	s_and_b64 s[30:31], s[2:3], s[30:31]
	v_mul_u64_e32 v[12:13], s[38:39], v[8:9]
	v_mul_u64_e32 v[4:5], s[30:31], v[8:9]
	s_delay_alu instid0(VALU_DEP_3) | instskip(NEXT) | instid1(VALU_DEP_1)
	v_add_nc_u64_e32 v[10:11], v[14:15], v[10:11]
	v_add_co_u32 v3, vcc_lo, v10, v4
	s_delay_alu instid0(VALU_DEP_2) | instskip(SKIP_1) | instid1(VALU_DEP_1)
	v_add_co_ci_u32_e32 v14, vcc_lo, v11, v5, vcc_lo
	v_add_co_ci_u32_e32 v13, vcc_lo, 0, v13, vcc_lo
	v_add_nc_u64_e32 v[4:5], v[14:15], v[12:13]
	s_delay_alu instid0(VALU_DEP_1) | instskip(NEXT) | instid1(VALU_DEP_1)
	v_mul_u64_e32 v[10:11], s[28:29], v[4:5]
	v_sub_nc_u32_e32 v3, v8, v11
	s_delay_alu instid0(VALU_DEP_2) | instskip(NEXT) | instid1(VALU_DEP_1)
	v_sub_co_u32 v6, vcc_lo, v6, v10
	v_sub_co_ci_u32_e64 v10, null, v8, v11, vcc_lo
	s_delay_alu instid0(VALU_DEP_3) | instskip(NEXT) | instid1(VALU_DEP_3)
	v_subrev_co_ci_u32_e64 v3, null, s29, v3, vcc_lo
	v_sub_co_u32 v7, s2, v6, s28
	s_delay_alu instid0(VALU_DEP_1) | instskip(NEXT) | instid1(VALU_DEP_2)
	v_subrev_co_ci_u32_e64 v3, null, 0, v3, s2
	v_cmp_le_u32_e32 vcc_lo, s28, v7
	v_cndmask_b32_e64 v7, 0, -1, vcc_lo
	s_delay_alu instid0(VALU_DEP_3)
	v_cmp_le_u32_e32 vcc_lo, s29, v3
	v_cndmask_b32_e64 v8, 0, -1, vcc_lo
	v_cmp_le_u32_e32 vcc_lo, s28, v6
	v_cndmask_b32_e64 v11, 0, -1, vcc_lo
	;; [unrolled: 2-line block ×3, first 2 shown]
	v_cmp_eq_u32_e32 vcc_lo, s29, v3
	v_cndmask_b32_e32 v3, v8, v7, vcc_lo
	v_cmp_eq_u32_e32 vcc_lo, s29, v10
	v_add_nc_u64_e32 v[6:7], 2, v[4:5]
	v_add_nc_u64_e32 v[8:9], 1, v[4:5]
	v_cndmask_b32_e32 v10, v12, v11, vcc_lo
	v_cmp_ne_u32_e32 vcc_lo, 0, v3
	s_delay_alu instid0(VALU_DEP_2) | instskip(NEXT) | instid1(VALU_DEP_4)
	v_cmp_ne_u32_e64 s2, 0, v10
	v_dual_cndmask_b32 v6, v8, v6 :: v_dual_cndmask_b32 v3, v9, v7
	s_delay_alu instid0(VALU_DEP_1) | instskip(NEXT) | instid1(VALU_DEP_1)
	v_dual_cndmask_b32 v4, v4, v6, s2 :: v_dual_cndmask_b32 v5, v5, v3, s2
	v_dual_mov_b32 v3, v2 :: v_dual_bitop2_b32 v4, v4, v2 bitop3:0x14
	s_delay_alu instid0(VALU_DEP_2) | instskip(NEXT) | instid1(VALU_DEP_1)
	v_xor_b32_e32 v5, v5, v2
	v_sub_nc_u64_e32 v[4:5], v[4:5], v[2:3]
.LBB3_3:
	s_and_not1_saveexec_b32 s2, s3
	s_cbranch_execz .LBB3_5
; %bb.4:
	v_cvt_f32_u32_e32 v2, s24
	s_sub_co_i32 s3, 0, s24
	s_delay_alu instid0(VALU_DEP_1) | instskip(SKIP_1) | instid1(TRANS32_DEP_1)
	v_rcp_iflag_f32_e32 v2, v2
	v_nop
	v_mul_f32_e32 v2, 0x4f7ffffe, v2
	s_delay_alu instid0(VALU_DEP_1) | instskip(NEXT) | instid1(VALU_DEP_1)
	v_cvt_u32_f32_e32 v2, v2
	v_mul_lo_u32 v3, s3, v2
	s_delay_alu instid0(VALU_DEP_1) | instskip(NEXT) | instid1(VALU_DEP_1)
	v_mul_hi_u32 v3, v2, v3
	v_add_nc_u32_e32 v2, v2, v3
	s_delay_alu instid0(VALU_DEP_1) | instskip(NEXT) | instid1(VALU_DEP_1)
	v_mul_hi_u32 v2, v0, v2
	v_mul_lo_u32 v3, v2, s24
	s_delay_alu instid0(VALU_DEP_1) | instskip(NEXT) | instid1(VALU_DEP_1)
	v_dual_add_nc_u32 v4, 1, v2 :: v_dual_sub_nc_u32 v3, v0, v3
	v_subrev_nc_u32_e32 v5, s24, v3
	v_cmp_le_u32_e32 vcc_lo, s24, v3
	s_delay_alu instid0(VALU_DEP_2) | instskip(NEXT) | instid1(VALU_DEP_4)
	v_dual_cndmask_b32 v3, v3, v5, vcc_lo :: v_dual_mov_b32 v5, 0
	v_cndmask_b32_e32 v2, v2, v4, vcc_lo
	s_delay_alu instid0(VALU_DEP_2) | instskip(NEXT) | instid1(VALU_DEP_2)
	v_cmp_le_u32_e32 vcc_lo, s24, v3
	v_add_nc_u32_e32 v4, 1, v2
	s_delay_alu instid0(VALU_DEP_1)
	v_cndmask_b32_e32 v4, v2, v4, vcc_lo
.LBB3_5:
	s_or_b32 exec_lo, exec_lo, s2
	s_delay_alu instid0(VALU_DEP_1) | instskip(SKIP_1) | instid1(VALU_DEP_1)
	v_dual_mov_b32 v6, 0 :: v_dual_bitop2_b32 v7, s9, v5 bitop3:0x54
                                        ; implicit-def: $vgpr2_vgpr3
	s_mov_b32 s2, exec_lo
	v_cmpx_ne_u64_e32 0, v[6:7]
	s_xor_b32 s3, exec_lo, s2
	s_cbranch_execz .LBB3_7
; %bb.6:
	s_cvt_f32_u32 s2, s8
	s_cvt_f32_u32 s24, s9
	s_sub_nc_u64 s[26:27], 0, s[8:9]
	s_mov_b32 s31, 0
	v_dual_mov_b32 v2, v4 :: v_dual_mov_b32 v3, v6
	s_fmamk_f32 s2, s24, 0x4f800000, s2
	v_dual_mov_b32 v8, v5 :: v_dual_mov_b32 v9, v6
	v_dual_mov_b32 v13, v6 :: v_dual_mov_b32 v7, v6
	s_delay_alu instid0(SALU_CYCLE_1) | instskip(NEXT) | instid1(TRANS32_DEP_1)
	v_s_rcp_f32 s2, s2
	s_mul_f32 s2, s2, 0x5f7ffffc
	s_delay_alu instid0(SALU_CYCLE_3) | instskip(NEXT) | instid1(SALU_CYCLE_3)
	s_mul_f32 s24, s2, 0x2f800000
	s_trunc_f32 s24, s24
	s_delay_alu instid0(SALU_CYCLE_3) | instskip(SKIP_1) | instid1(SALU_CYCLE_2)
	s_fmamk_f32 s2, s24, 0xcf800000, s2
	s_cvt_u32_f32 s25, s24
	s_cvt_u32_f32 s24, s2
	s_delay_alu instid0(SALU_CYCLE_3) | instskip(NEXT) | instid1(SALU_CYCLE_1)
	s_mul_u64 s[28:29], s[26:27], s[24:25]
	s_mul_hi_u32 s35, s24, s29
	s_mul_i32 s34, s24, s29
	s_mul_hi_u32 s30, s24, s28
	s_mul_i32 s33, s25, s28
	s_add_nc_u64 s[34:35], s[30:31], s[34:35]
	s_mul_hi_u32 s2, s25, s28
	s_mul_hi_u32 s36, s25, s29
	s_mul_i32 s28, s25, s29
	s_add_co_u32 s29, s34, s33
	s_add_co_ci_u32 s30, s35, s2
	s_add_co_ci_u32 s29, s36, 0
	s_delay_alu instid0(SALU_CYCLE_1) | instskip(NEXT) | instid1(SALU_CYCLE_1)
	s_add_nc_u64 s[28:29], s[30:31], s[28:29]
	s_add_co_u32 s24, s24, s28
	s_cselect_b32 s2, -1, 0
	s_delay_alu instid0(SALU_CYCLE_1) | instskip(SKIP_1) | instid1(SALU_CYCLE_1)
	s_cmp_lg_u32 s2, 0
	s_add_co_ci_u32 s25, s25, s29
	s_mul_u64 s[26:27], s[26:27], s[24:25]
	s_delay_alu instid0(SALU_CYCLE_1)
	s_mul_hi_u32 s29, s24, s27
	s_mul_i32 s28, s24, s27
	s_mul_hi_u32 s30, s24, s26
	s_mul_i32 s33, s25, s26
	s_add_nc_u64 s[28:29], s[30:31], s[28:29]
	s_mul_hi_u32 s2, s25, s26
	s_mul_hi_u32 s34, s25, s27
	s_mul_i32 s26, s25, s27
	s_add_co_u32 s27, s28, s33
	s_add_co_ci_u32 s30, s29, s2
	s_add_co_ci_u32 s27, s34, 0
	s_delay_alu instid0(SALU_CYCLE_1) | instskip(NEXT) | instid1(SALU_CYCLE_1)
	s_add_nc_u64 s[26:27], s[30:31], s[26:27]
	s_add_co_u32 s2, s24, s26
	s_cselect_b32 s24, -1, 0
	v_nop
	v_mul_hi_u32 v12, v4, s2
	s_cmp_lg_u32 s24, 0
	s_add_co_ci_u32 s30, s25, s27
	s_mov_b64 s[24:25], 0xffffffff
	v_mul_u64_e32 v[2:3], s[30:31], v[2:3]
	s_and_b64 s[24:25], s[2:3], s[24:25]
	s_delay_alu instid0(SALU_CYCLE_1) | instskip(SKIP_1) | instid1(VALU_DEP_3)
	v_mul_u64_e32 v[10:11], s[24:25], v[8:9]
	v_mul_u64_e32 v[8:9], s[30:31], v[8:9]
	v_add_nc_u64_e32 v[2:3], v[12:13], v[2:3]
	s_delay_alu instid0(VALU_DEP_1) | instskip(NEXT) | instid1(VALU_DEP_2)
	v_add_co_u32 v2, vcc_lo, v2, v10
	v_add_co_ci_u32_e32 v6, vcc_lo, v3, v11, vcc_lo
	s_delay_alu instid0(VALU_DEP_4) | instskip(NEXT) | instid1(VALU_DEP_1)
	v_add_co_ci_u32_e32 v9, vcc_lo, 0, v9, vcc_lo
	v_add_nc_u64_e32 v[2:3], v[6:7], v[8:9]
	s_delay_alu instid0(VALU_DEP_1) | instskip(NEXT) | instid1(VALU_DEP_1)
	v_mul_u64_e32 v[2:3], s[8:9], v[2:3]
	v_sub_nc_u32_e32 v6, v5, v3
	s_delay_alu instid0(VALU_DEP_2) | instskip(NEXT) | instid1(VALU_DEP_1)
	v_sub_co_u32 v2, vcc_lo, v4, v2
	v_sub_co_ci_u32_e64 v3, null, v5, v3, vcc_lo
	s_delay_alu instid0(VALU_DEP_3) | instskip(NEXT) | instid1(VALU_DEP_3)
	v_subrev_co_ci_u32_e64 v4, null, s9, v6, vcc_lo
	v_sub_co_u32 v5, vcc_lo, v2, s8
	v_cmp_le_u32_e64 s2, s8, v2
	s_delay_alu instid0(VALU_DEP_3) | instskip(SKIP_1) | instid1(VALU_DEP_3)
	v_subrev_co_ci_u32_e64 v6, null, 0, v4, vcc_lo
	v_subrev_co_ci_u32_e64 v4, null, s9, v4, vcc_lo
	v_cndmask_b32_e64 v7, 0, -1, s2
	v_cmp_le_u32_e64 s2, s8, v5
	v_cmp_le_u32_e32 vcc_lo, s9, v3
	s_delay_alu instid0(VALU_DEP_2) | instskip(SKIP_3) | instid1(VALU_DEP_3)
	v_cndmask_b32_e64 v8, 0, -1, s2
	v_cmp_le_u32_e64 s2, s9, v6
	v_cndmask_b32_e64 v10, 0, -1, vcc_lo
	v_cmp_eq_u32_e32 vcc_lo, s9, v6
	v_cndmask_b32_e64 v9, 0, -1, s2
	s_delay_alu instid0(VALU_DEP_1) | instskip(SKIP_1) | instid1(VALU_DEP_1)
	v_cndmask_b32_e32 v6, v9, v8, vcc_lo
	v_sub_co_u32 v8, vcc_lo, v5, s8
	v_subrev_co_ci_u32_e64 v4, null, 0, v4, vcc_lo
	v_cmp_eq_u32_e32 vcc_lo, s9, v3
	v_cndmask_b32_e32 v3, v10, v7, vcc_lo
	v_cmp_ne_u32_e32 vcc_lo, 0, v6
	v_cndmask_b32_e32 v4, v5, v8, vcc_lo
	s_delay_alu instid0(VALU_DEP_3) | instskip(NEXT) | instid1(VALU_DEP_2)
	v_cmp_ne_u32_e32 vcc_lo, 0, v3
	v_cndmask_b32_e32 v2, v2, v4, vcc_lo
                                        ; implicit-def: $vgpr4_vgpr5
.LBB3_7:
	s_and_not1_saveexec_b32 s2, s3
	s_cbranch_execz .LBB3_9
; %bb.8:
	v_cvt_f32_u32_e32 v2, s8
	s_sub_co_i32 s3, 0, s8
	s_delay_alu instid0(VALU_DEP_1) | instskip(SKIP_1) | instid1(TRANS32_DEP_1)
	v_rcp_iflag_f32_e32 v2, v2
	v_nop
	v_mul_f32_e32 v2, 0x4f7ffffe, v2
	s_delay_alu instid0(VALU_DEP_1) | instskip(NEXT) | instid1(VALU_DEP_1)
	v_cvt_u32_f32_e32 v2, v2
	v_mul_lo_u32 v3, s3, v2
	s_delay_alu instid0(VALU_DEP_1) | instskip(NEXT) | instid1(VALU_DEP_1)
	v_mul_hi_u32 v3, v2, v3
	v_add_nc_u32_e32 v2, v2, v3
	s_delay_alu instid0(VALU_DEP_1) | instskip(NEXT) | instid1(VALU_DEP_1)
	v_mul_hi_u32 v2, v4, v2
	v_mul_lo_u32 v2, v2, s8
	s_delay_alu instid0(VALU_DEP_1) | instskip(NEXT) | instid1(VALU_DEP_1)
	v_sub_nc_u32_e32 v2, v4, v2
	v_subrev_nc_u32_e32 v3, s8, v2
	v_cmp_le_u32_e32 vcc_lo, s8, v2
	s_delay_alu instid0(VALU_DEP_2) | instskip(NEXT) | instid1(VALU_DEP_1)
	v_cndmask_b32_e32 v2, v2, v3, vcc_lo
	v_subrev_nc_u32_e32 v3, s8, v2
	v_cmp_le_u32_e32 vcc_lo, s8, v2
	s_delay_alu instid0(VALU_DEP_2)
	v_cndmask_b32_e32 v2, v2, v3, vcc_lo
.LBB3_9:
	s_or_b32 exec_lo, exec_lo, s2
	v_dual_mov_b32 v6, 0 :: v_dual_bitop2_b32 v7, s21, v1 bitop3:0x54
	s_cvt_f32_u32 s29, s20
	s_cvt_f32_u32 s30, s21
	s_sub_nc_u64 s[26:27], 0, s[20:21]
                                        ; implicit-def: $vgpr4_vgpr5
	s_mov_b32 s2, exec_lo
	v_cmpx_ne_u64_e32 0, v[6:7]
	s_xor_b32 s3, exec_lo, s2
	s_cbranch_execz .LBB3_11
; %bb.10:
	s_fmamk_f32 s2, s30, 0x4f800000, s29
	s_mov_b32 s37, 0
	v_dual_mov_b32 v4, v0 :: v_dual_mov_b32 v5, v6
	s_delay_alu instid0(SALU_CYCLE_1) | instskip(SKIP_2) | instid1(TRANS32_DEP_1)
	v_s_rcp_f32 s2, s2
	v_dual_mov_b32 v8, v1 :: v_dual_mov_b32 v9, v6
	v_dual_mov_b32 v13, v6 :: v_dual_mov_b32 v7, v6
	s_mul_f32 s2, s2, 0x5f7ffffc
	s_delay_alu instid0(SALU_CYCLE_3) | instskip(NEXT) | instid1(SALU_CYCLE_3)
	s_mul_f32 s24, s2, 0x2f800000
	s_trunc_f32 s24, s24
	s_delay_alu instid0(SALU_CYCLE_3) | instskip(SKIP_1) | instid1(SALU_CYCLE_2)
	s_fmamk_f32 s2, s24, 0xcf800000, s2
	s_cvt_u32_f32 s25, s24
	s_cvt_u32_f32 s24, s2
	s_delay_alu instid0(SALU_CYCLE_3) | instskip(NEXT) | instid1(SALU_CYCLE_1)
	s_mul_u64 s[34:35], s[26:27], s[24:25]
	s_mul_hi_u32 s39, s24, s35
	s_mul_i32 s38, s24, s35
	s_mul_hi_u32 s36, s24, s34
	s_mul_i32 s28, s25, s34
	s_add_nc_u64 s[38:39], s[36:37], s[38:39]
	s_mul_hi_u32 s2, s25, s34
	s_mul_hi_u32 s31, s25, s35
	s_add_co_u32 s28, s38, s28
	s_add_co_ci_u32 s36, s39, s2
	s_mul_i32 s34, s25, s35
	s_add_co_ci_u32 s35, s31, 0
	s_delay_alu instid0(SALU_CYCLE_1) | instskip(NEXT) | instid1(SALU_CYCLE_1)
	s_add_nc_u64 s[34:35], s[36:37], s[34:35]
	s_add_co_u32 s24, s24, s34
	s_cselect_b32 s2, -1, 0
	s_delay_alu instid0(SALU_CYCLE_1) | instskip(SKIP_1) | instid1(SALU_CYCLE_1)
	s_cmp_lg_u32 s2, 0
	s_add_co_ci_u32 s25, s25, s35
	s_mul_u64 s[34:35], s[26:27], s[24:25]
	s_delay_alu instid0(SALU_CYCLE_1)
	s_mul_hi_u32 s39, s24, s35
	s_mul_i32 s38, s24, s35
	s_mul_hi_u32 s36, s24, s34
	s_mul_i32 s28, s25, s34
	s_add_nc_u64 s[38:39], s[36:37], s[38:39]
	s_mul_hi_u32 s2, s25, s34
	s_mul_hi_u32 s31, s25, s35
	s_add_co_u32 s28, s38, s28
	s_add_co_ci_u32 s36, s39, s2
	s_mul_i32 s34, s25, s35
	s_add_co_ci_u32 s35, s31, 0
	s_delay_alu instid0(SALU_CYCLE_1) | instskip(NEXT) | instid1(SALU_CYCLE_1)
	s_add_nc_u64 s[34:35], s[36:37], s[34:35]
	s_add_co_u32 s2, s24, s34
	s_cselect_b32 s24, -1, 0
	v_mul_hi_u32 v12, v0, s2
	s_cmp_lg_u32 s24, 0
	s_add_co_ci_u32 s36, s25, s35
	s_mov_b64 s[24:25], 0xffffffff
	v_mul_u64_e32 v[4:5], s[36:37], v[4:5]
	s_and_b64 s[24:25], s[2:3], s[24:25]
	s_delay_alu instid0(SALU_CYCLE_1) | instskip(SKIP_1) | instid1(VALU_DEP_3)
	v_mul_u64_e32 v[10:11], s[24:25], v[8:9]
	v_mul_u64_e32 v[8:9], s[36:37], v[8:9]
	v_add_nc_u64_e32 v[4:5], v[12:13], v[4:5]
	s_delay_alu instid0(VALU_DEP_1) | instskip(NEXT) | instid1(VALU_DEP_2)
	v_add_co_u32 v3, vcc_lo, v4, v10
	v_add_co_ci_u32_e32 v6, vcc_lo, v5, v11, vcc_lo
	s_delay_alu instid0(VALU_DEP_4) | instskip(NEXT) | instid1(VALU_DEP_1)
	v_add_co_ci_u32_e32 v9, vcc_lo, 0, v9, vcc_lo
	v_add_nc_u64_e32 v[4:5], v[6:7], v[8:9]
	s_delay_alu instid0(VALU_DEP_1) | instskip(SKIP_1) | instid1(VALU_DEP_2)
	v_mul_u64_e32 v[6:7], s[20:21], v[4:5]
	v_add_nc_u64_e32 v[8:9], 2, v[4:5]
	v_sub_nc_u32_e32 v3, v1, v7
	s_delay_alu instid0(VALU_DEP_3) | instskip(NEXT) | instid1(VALU_DEP_1)
	v_sub_co_u32 v6, vcc_lo, v0, v6
	v_sub_co_ci_u32_e64 v12, null, v1, v7, vcc_lo
	s_delay_alu instid0(VALU_DEP_3) | instskip(NEXT) | instid1(VALU_DEP_3)
	v_subrev_co_ci_u32_e64 v3, null, s21, v3, vcc_lo
	v_sub_co_u32 v10, s2, v6, s20
	v_cmp_le_u32_e32 vcc_lo, s20, v6
	s_delay_alu instid0(VALU_DEP_3) | instskip(NEXT) | instid1(VALU_DEP_3)
	v_subrev_co_ci_u32_e64 v3, null, 0, v3, s2
	v_cmp_le_u32_e64 s2, s20, v10
	v_add_nc_u64_e32 v[6:7], 1, v[4:5]
	v_cndmask_b32_e64 v13, 0, -1, vcc_lo
	s_delay_alu instid0(VALU_DEP_4) | instskip(NEXT) | instid1(VALU_DEP_4)
	v_cmp_eq_u32_e32 vcc_lo, s21, v3
	v_cndmask_b32_e64 v10, 0, -1, s2
	v_cmp_le_u32_e64 s2, s21, v3
	s_delay_alu instid0(VALU_DEP_1) | instskip(SKIP_1) | instid1(VALU_DEP_2)
	v_cndmask_b32_e64 v11, 0, -1, s2
	v_cmp_eq_u32_e64 s2, s21, v12
	v_cndmask_b32_e32 v3, v11, v10, vcc_lo
	v_cmp_le_u32_e32 vcc_lo, s21, v12
	v_cndmask_b32_e64 v10, 0, -1, vcc_lo
	s_delay_alu instid0(VALU_DEP_3) | instskip(SKIP_1) | instid1(VALU_DEP_3)
	v_cmp_ne_u32_e32 vcc_lo, 0, v3
	v_cndmask_b32_e32 v7, v7, v9, vcc_lo
	v_cndmask_b32_e64 v3, v10, v13, s2
	v_cndmask_b32_e32 v6, v6, v8, vcc_lo
	s_delay_alu instid0(VALU_DEP_2) | instskip(NEXT) | instid1(VALU_DEP_2)
	v_cmp_ne_u32_e32 vcc_lo, 0, v3
	v_dual_cndmask_b32 v5, v5, v7 :: v_dual_cndmask_b32 v4, v4, v6
.LBB3_11:
	s_or_saveexec_b32 s2, s3
	v_cvt_f32_u32_e32 v12, s20
	s_xor_b32 exec_lo, exec_lo, s2
	s_cbranch_execz .LBB3_13
; %bb.12:
	s_delay_alu instid0(VALU_DEP_1) | instskip(SKIP_2) | instid1(TRANS32_DEP_1)
	v_rcp_iflag_f32_e32 v3, v12
	s_sub_co_i32 s3, 0, s20
	v_nop
	v_mul_f32_e32 v3, 0x4f7ffffe, v3
	s_delay_alu instid0(VALU_DEP_1) | instskip(NEXT) | instid1(VALU_DEP_1)
	v_cvt_u32_f32_e32 v3, v3
	v_mul_lo_u32 v4, s3, v3
	s_delay_alu instid0(VALU_DEP_1) | instskip(NEXT) | instid1(VALU_DEP_1)
	v_mul_hi_u32 v4, v3, v4
	v_add_nc_u32_e32 v3, v3, v4
	s_delay_alu instid0(VALU_DEP_1) | instskip(NEXT) | instid1(VALU_DEP_1)
	v_mul_hi_u32 v3, v0, v3
	v_mul_lo_u32 v4, v3, s20
	s_delay_alu instid0(VALU_DEP_1) | instskip(NEXT) | instid1(VALU_DEP_1)
	v_dual_add_nc_u32 v5, 1, v3 :: v_dual_sub_nc_u32 v4, v0, v4
	v_subrev_nc_u32_e32 v6, s20, v4
	v_cmp_le_u32_e32 vcc_lo, s20, v4
	s_delay_alu instid0(VALU_DEP_2) | instskip(NEXT) | instid1(VALU_DEP_1)
	v_dual_cndmask_b32 v4, v4, v6 :: v_dual_cndmask_b32 v3, v3, v5
	v_cmp_le_u32_e32 vcc_lo, s20, v4
	s_delay_alu instid0(VALU_DEP_2) | instskip(NEXT) | instid1(VALU_DEP_1)
	v_add_nc_u32_e32 v5, 1, v3
	v_dual_cndmask_b32 v4, v3, v5 :: v_dual_mov_b32 v5, 0
.LBB3_13:
	s_or_b32 exec_lo, exec_lo, s2
	v_dual_mov_b32 v8, 0 :: v_dual_bitop2_b32 v9, s19, v1 bitop3:0x54
	s_cvt_f32_u32 s3, s18
	s_cvt_f32_u32 s28, s19
	s_sub_nc_u64 s[24:25], 0, s[18:19]
                                        ; implicit-def: $vgpr6_vgpr7
	s_mov_b32 s2, exec_lo
	v_cmpx_ne_u64_e32 0, v[8:9]
	s_xor_b32 s31, exec_lo, s2
	s_cbranch_execz .LBB3_15
; %bb.14:
	s_fmamk_f32 s2, s28, 0x4f800000, s3
	s_mov_b32 s39, 0
	v_dual_mov_b32 v6, v0 :: v_dual_mov_b32 v7, v8
	s_delay_alu instid0(SALU_CYCLE_1) | instskip(SKIP_2) | instid1(TRANS32_DEP_1)
	v_s_rcp_f32 s2, s2
	v_dual_mov_b32 v10, v1 :: v_dual_mov_b32 v11, v8
	v_dual_mov_b32 v17, v8 :: v_dual_mov_b32 v9, v8
	s_mul_f32 s2, s2, 0x5f7ffffc
	s_delay_alu instid0(SALU_CYCLE_3) | instskip(NEXT) | instid1(SALU_CYCLE_3)
	s_mul_f32 s33, s2, 0x2f800000
	s_trunc_f32 s33, s33
	s_delay_alu instid0(SALU_CYCLE_3) | instskip(SKIP_1) | instid1(SALU_CYCLE_2)
	s_fmamk_f32 s2, s33, 0xcf800000, s2
	s_cvt_u32_f32 s35, s33
	s_cvt_u32_f32 s34, s2
	s_delay_alu instid0(SALU_CYCLE_3) | instskip(NEXT) | instid1(SALU_CYCLE_1)
	s_mul_u64 s[36:37], s[24:25], s[34:35]
	s_mul_hi_u32 s41, s34, s37
	s_mul_i32 s40, s34, s37
	s_mul_hi_u32 s38, s34, s36
	s_mul_i32 s33, s35, s36
	s_add_nc_u64 s[40:41], s[38:39], s[40:41]
	s_mul_hi_u32 s2, s35, s36
	s_mul_hi_u32 s42, s35, s37
	s_add_co_u32 s33, s40, s33
	s_add_co_ci_u32 s38, s41, s2
	s_mul_i32 s36, s35, s37
	s_add_co_ci_u32 s37, s42, 0
	s_delay_alu instid0(SALU_CYCLE_1) | instskip(NEXT) | instid1(SALU_CYCLE_1)
	s_add_nc_u64 s[36:37], s[38:39], s[36:37]
	s_add_co_u32 s34, s34, s36
	s_cselect_b32 s2, -1, 0
	s_delay_alu instid0(SALU_CYCLE_1) | instskip(SKIP_1) | instid1(SALU_CYCLE_1)
	s_cmp_lg_u32 s2, 0
	s_add_co_ci_u32 s35, s35, s37
	s_mul_u64 s[36:37], s[24:25], s[34:35]
	s_delay_alu instid0(SALU_CYCLE_1)
	s_mul_hi_u32 s41, s34, s37
	s_mul_i32 s40, s34, s37
	s_mul_hi_u32 s38, s34, s36
	s_mul_i32 s33, s35, s36
	s_add_nc_u64 s[40:41], s[38:39], s[40:41]
	s_mul_hi_u32 s2, s35, s36
	s_mul_hi_u32 s42, s35, s37
	s_add_co_u32 s33, s40, s33
	s_add_co_ci_u32 s38, s41, s2
	s_mul_i32 s36, s35, s37
	s_add_co_ci_u32 s37, s42, 0
	s_delay_alu instid0(SALU_CYCLE_1) | instskip(NEXT) | instid1(SALU_CYCLE_1)
	s_add_nc_u64 s[36:37], s[38:39], s[36:37]
	s_add_co_u32 s2, s34, s36
	s_cselect_b32 s33, -1, 0
	v_mul_hi_u32 v16, v0, s2
	s_cmp_lg_u32 s33, 0
	s_add_co_ci_u32 s38, s35, s37
	s_mov_b64 s[34:35], 0xffffffff
	v_mul_u64_e32 v[6:7], s[38:39], v[6:7]
	s_and_b64 s[34:35], s[2:3], s[34:35]
	s_delay_alu instid0(SALU_CYCLE_1) | instskip(SKIP_1) | instid1(VALU_DEP_3)
	v_mul_u64_e32 v[14:15], s[34:35], v[10:11]
	v_mul_u64_e32 v[10:11], s[38:39], v[10:11]
	v_add_nc_u64_e32 v[6:7], v[16:17], v[6:7]
	s_delay_alu instid0(VALU_DEP_1) | instskip(NEXT) | instid1(VALU_DEP_2)
	v_add_co_u32 v3, vcc_lo, v6, v14
	v_add_co_ci_u32_e32 v8, vcc_lo, v7, v15, vcc_lo
	s_delay_alu instid0(VALU_DEP_4) | instskip(NEXT) | instid1(VALU_DEP_1)
	v_add_co_ci_u32_e32 v11, vcc_lo, 0, v11, vcc_lo
	v_add_nc_u64_e32 v[6:7], v[8:9], v[10:11]
	s_delay_alu instid0(VALU_DEP_1) | instskip(SKIP_1) | instid1(VALU_DEP_2)
	v_mul_u64_e32 v[8:9], s[18:19], v[6:7]
	v_add_nc_u64_e32 v[10:11], 2, v[6:7]
	v_sub_nc_u32_e32 v3, v1, v9
	s_delay_alu instid0(VALU_DEP_3) | instskip(NEXT) | instid1(VALU_DEP_1)
	v_sub_co_u32 v8, vcc_lo, v0, v8
	v_sub_co_ci_u32_e64 v15, null, v1, v9, vcc_lo
	s_delay_alu instid0(VALU_DEP_3) | instskip(NEXT) | instid1(VALU_DEP_3)
	v_subrev_co_ci_u32_e64 v3, null, s19, v3, vcc_lo
	v_sub_co_u32 v13, s2, v8, s18
	v_cmp_le_u32_e32 vcc_lo, s18, v8
	s_delay_alu instid0(VALU_DEP_3) | instskip(NEXT) | instid1(VALU_DEP_3)
	v_subrev_co_ci_u32_e64 v3, null, 0, v3, s2
	v_cmp_le_u32_e64 s2, s18, v13
	v_add_nc_u64_e32 v[8:9], 1, v[6:7]
	v_cndmask_b32_e64 v16, 0, -1, vcc_lo
	s_delay_alu instid0(VALU_DEP_4) | instskip(NEXT) | instid1(VALU_DEP_4)
	v_cmp_eq_u32_e32 vcc_lo, s19, v3
	v_cndmask_b32_e64 v13, 0, -1, s2
	v_cmp_le_u32_e64 s2, s19, v3
	s_delay_alu instid0(VALU_DEP_1) | instskip(SKIP_1) | instid1(VALU_DEP_2)
	v_cndmask_b32_e64 v14, 0, -1, s2
	v_cmp_eq_u32_e64 s2, s19, v15
	v_cndmask_b32_e32 v3, v14, v13, vcc_lo
	v_cmp_le_u32_e32 vcc_lo, s19, v15
	v_cndmask_b32_e64 v13, 0, -1, vcc_lo
	s_delay_alu instid0(VALU_DEP_3) | instskip(SKIP_1) | instid1(VALU_DEP_3)
	v_cmp_ne_u32_e32 vcc_lo, 0, v3
	v_cndmask_b32_e32 v9, v9, v11, vcc_lo
	v_dual_cndmask_b32 v3, v13, v16, s2 :: v_dual_cndmask_b32 v8, v8, v10, vcc_lo
	s_delay_alu instid0(VALU_DEP_1) | instskip(NEXT) | instid1(VALU_DEP_2)
	v_cmp_ne_u32_e32 vcc_lo, 0, v3
	v_dual_cndmask_b32 v7, v7, v9 :: v_dual_cndmask_b32 v6, v6, v8
.LBB3_15:
	s_or_saveexec_b32 s2, s31
	v_cvt_f32_u32_e32 v3, s18
	s_xor_b32 exec_lo, exec_lo, s2
	s_cbranch_execz .LBB3_17
; %bb.16:
	s_delay_alu instid0(VALU_DEP_1) | instskip(SKIP_2) | instid1(TRANS32_DEP_1)
	v_rcp_iflag_f32_e32 v6, v3
	s_sub_co_i32 s31, 0, s18
	v_nop
	v_mul_f32_e32 v6, 0x4f7ffffe, v6
	s_delay_alu instid0(VALU_DEP_1) | instskip(NEXT) | instid1(VALU_DEP_1)
	v_cvt_u32_f32_e32 v6, v6
	v_mul_lo_u32 v7, s31, v6
	s_delay_alu instid0(VALU_DEP_1) | instskip(NEXT) | instid1(VALU_DEP_1)
	v_mul_hi_u32 v7, v6, v7
	v_add_nc_u32_e32 v6, v6, v7
	s_delay_alu instid0(VALU_DEP_1) | instskip(NEXT) | instid1(VALU_DEP_1)
	v_mul_hi_u32 v6, v0, v6
	v_mul_lo_u32 v7, v6, s18
	s_delay_alu instid0(VALU_DEP_1) | instskip(NEXT) | instid1(VALU_DEP_1)
	v_dual_add_nc_u32 v8, 1, v6 :: v_dual_sub_nc_u32 v7, v0, v7
	v_subrev_nc_u32_e32 v9, s18, v7
	v_cmp_le_u32_e32 vcc_lo, s18, v7
	s_delay_alu instid0(VALU_DEP_2) | instskip(NEXT) | instid1(VALU_DEP_1)
	v_dual_cndmask_b32 v7, v7, v9 :: v_dual_cndmask_b32 v6, v6, v8
	v_cmp_le_u32_e32 vcc_lo, s18, v7
	s_delay_alu instid0(VALU_DEP_2) | instskip(NEXT) | instid1(VALU_DEP_1)
	v_dual_mov_b32 v7, 0 :: v_dual_add_nc_u32 v8, 1, v6
	v_cndmask_b32_e32 v6, v6, v8, vcc_lo
.LBB3_17:
	s_or_b32 exec_lo, exec_lo, s2
	s_delay_alu instid0(VALU_DEP_2) | instskip(SKIP_1) | instid1(VALU_DEP_1)
	v_dual_mov_b32 v10, 0 :: v_dual_bitop2_b32 v11, s21, v7 bitop3:0x54
                                        ; implicit-def: $vgpr8_vgpr9
	s_mov_b32 s2, exec_lo
	v_cmpx_ne_u64_e32 0, v[10:11]
	s_xor_b32 s31, exec_lo, s2
	s_cbranch_execz .LBB3_19
; %bb.18:
	s_fmamk_f32 s2, s30, 0x4f800000, s29
	s_mov_b32 s39, 0
	v_dual_mov_b32 v8, v6 :: v_dual_mov_b32 v9, v10
	s_delay_alu instid0(SALU_CYCLE_1) | instskip(SKIP_2) | instid1(TRANS32_DEP_1)
	v_s_rcp_f32 s2, s2
	v_dual_mov_b32 v12, v7 :: v_dual_mov_b32 v13, v10
	v_dual_mov_b32 v17, v10 :: v_dual_mov_b32 v11, v10
	s_mul_f32 s2, s2, 0x5f7ffffc
	s_delay_alu instid0(SALU_CYCLE_3) | instskip(NEXT) | instid1(SALU_CYCLE_3)
	s_mul_f32 s29, s2, 0x2f800000
	s_trunc_f32 s29, s29
	s_delay_alu instid0(SALU_CYCLE_3) | instskip(SKIP_1) | instid1(SALU_CYCLE_2)
	s_fmamk_f32 s2, s29, 0xcf800000, s2
	s_cvt_u32_f32 s35, s29
	s_cvt_u32_f32 s34, s2
	s_delay_alu instid0(SALU_CYCLE_3) | instskip(NEXT) | instid1(SALU_CYCLE_1)
	s_mul_u64 s[36:37], s[26:27], s[34:35]
	s_mul_hi_u32 s41, s34, s37
	s_mul_i32 s40, s34, s37
	s_mul_hi_u32 s38, s34, s36
	s_mul_i32 s29, s35, s36
	s_add_nc_u64 s[40:41], s[38:39], s[40:41]
	s_mul_hi_u32 s2, s35, s36
	s_mul_hi_u32 s30, s35, s37
	s_add_co_u32 s29, s40, s29
	s_add_co_ci_u32 s38, s41, s2
	s_mul_i32 s36, s35, s37
	s_add_co_ci_u32 s37, s30, 0
	s_delay_alu instid0(SALU_CYCLE_1) | instskip(NEXT) | instid1(SALU_CYCLE_1)
	s_add_nc_u64 s[36:37], s[38:39], s[36:37]
	s_add_co_u32 s34, s34, s36
	s_cselect_b32 s2, -1, 0
	s_delay_alu instid0(SALU_CYCLE_1) | instskip(SKIP_1) | instid1(SALU_CYCLE_1)
	s_cmp_lg_u32 s2, 0
	s_add_co_ci_u32 s35, s35, s37
	s_mul_u64 s[26:27], s[26:27], s[34:35]
	s_delay_alu instid0(SALU_CYCLE_1)
	s_mul_hi_u32 s37, s34, s27
	s_mul_i32 s36, s34, s27
	s_mul_hi_u32 s38, s34, s26
	s_mul_i32 s29, s35, s26
	s_add_nc_u64 s[36:37], s[38:39], s[36:37]
	s_mul_hi_u32 s2, s35, s26
	s_mul_hi_u32 s30, s35, s27
	s_mul_i32 s26, s35, s27
	s_add_co_u32 s27, s36, s29
	s_add_co_ci_u32 s38, s37, s2
	s_add_co_ci_u32 s27, s30, 0
	s_delay_alu instid0(SALU_CYCLE_1) | instskip(NEXT) | instid1(SALU_CYCLE_1)
	s_add_nc_u64 s[26:27], s[38:39], s[26:27]
	s_add_co_u32 s2, s34, s26
	s_cselect_b32 s26, -1, 0
	v_mul_hi_u32 v16, v6, s2
	s_cmp_lg_u32 s26, 0
	s_add_co_ci_u32 s38, s35, s27
	s_mov_b64 s[26:27], 0xffffffff
	v_mul_u64_e32 v[8:9], s[38:39], v[8:9]
	s_and_b64 s[26:27], s[2:3], s[26:27]
	s_delay_alu instid0(SALU_CYCLE_1) | instskip(SKIP_1) | instid1(VALU_DEP_3)
	v_mul_u64_e32 v[14:15], s[26:27], v[12:13]
	v_mul_u64_e32 v[12:13], s[38:39], v[12:13]
	v_add_nc_u64_e32 v[8:9], v[16:17], v[8:9]
	s_delay_alu instid0(VALU_DEP_1) | instskip(NEXT) | instid1(VALU_DEP_2)
	v_add_co_u32 v8, vcc_lo, v8, v14
	v_add_co_ci_u32_e32 v10, vcc_lo, v9, v15, vcc_lo
	s_delay_alu instid0(VALU_DEP_4) | instskip(NEXT) | instid1(VALU_DEP_1)
	v_add_co_ci_u32_e32 v13, vcc_lo, 0, v13, vcc_lo
	v_add_nc_u64_e32 v[8:9], v[10:11], v[12:13]
	s_delay_alu instid0(VALU_DEP_1) | instskip(NEXT) | instid1(VALU_DEP_1)
	v_mul_u64_e32 v[10:11], s[20:21], v[8:9]
	v_sub_nc_u32_e32 v12, v7, v11
	s_delay_alu instid0(VALU_DEP_2) | instskip(NEXT) | instid1(VALU_DEP_1)
	v_sub_co_u32 v6, vcc_lo, v6, v10
	v_sub_co_ci_u32_e64 v11, null, v7, v11, vcc_lo
	s_delay_alu instid0(VALU_DEP_3) | instskip(NEXT) | instid1(VALU_DEP_3)
	v_subrev_co_ci_u32_e64 v10, null, s21, v12, vcc_lo
	v_sub_co_u32 v14, s2, v6, s20
	v_cmp_le_u32_e32 vcc_lo, s20, v6
	s_delay_alu instid0(VALU_DEP_3) | instskip(NEXT) | instid1(VALU_DEP_3)
	v_subrev_co_ci_u32_e64 v10, null, 0, v10, s2
	v_cmp_le_u32_e64 s2, s20, v14
	v_add_nc_u64_e32 v[12:13], 2, v[8:9]
	v_cndmask_b32_e64 v16, 0, -1, vcc_lo
	s_delay_alu instid0(VALU_DEP_4) | instskip(SKIP_3) | instid1(VALU_DEP_1)
	v_cmp_eq_u32_e32 vcc_lo, s21, v10
	v_add_nc_u64_e32 v[6:7], 1, v[8:9]
	v_cndmask_b32_e64 v14, 0, -1, s2
	v_cmp_le_u32_e64 s2, s21, v10
	v_cndmask_b32_e64 v15, 0, -1, s2
	v_cmp_eq_u32_e64 s2, s21, v11
	s_delay_alu instid0(VALU_DEP_2) | instskip(SKIP_2) | instid1(VALU_DEP_3)
	v_cndmask_b32_e32 v10, v15, v14, vcc_lo
	v_cmp_le_u32_e32 vcc_lo, s21, v11
	v_cndmask_b32_e64 v14, 0, -1, vcc_lo
	v_cmp_ne_u32_e32 vcc_lo, 0, v10
	s_delay_alu instid0(VALU_DEP_2) | instskip(SKIP_1) | instid1(VALU_DEP_2)
	v_cndmask_b32_e64 v10, v14, v16, s2
	v_dual_cndmask_b32 v6, v6, v12 :: v_dual_cndmask_b32 v7, v7, v13
                                        ; implicit-def: $vgpr12
	v_cmp_ne_u32_e32 vcc_lo, 0, v10
	s_delay_alu instid0(VALU_DEP_2)
	v_dual_cndmask_b32 v8, v8, v6 :: v_dual_cndmask_b32 v9, v9, v7
                                        ; implicit-def: $vgpr6_vgpr7
.LBB3_19:
	s_and_not1_saveexec_b32 s2, s31
	s_cbranch_execz .LBB3_21
; %bb.20:
	v_rcp_iflag_f32_e32 v7, v12
	s_sub_co_i32 s26, 0, s20
	v_nop
	s_delay_alu instid0(TRANS32_DEP_1) | instskip(NEXT) | instid1(VALU_DEP_1)
	v_mul_f32_e32 v7, 0x4f7ffffe, v7
	v_cvt_u32_f32_e32 v7, v7
	s_delay_alu instid0(VALU_DEP_1) | instskip(NEXT) | instid1(VALU_DEP_1)
	v_mul_lo_u32 v8, s26, v7
	v_mul_hi_u32 v8, v7, v8
	s_delay_alu instid0(VALU_DEP_1) | instskip(NEXT) | instid1(VALU_DEP_1)
	v_add_nc_u32_e32 v7, v7, v8
	v_mul_hi_u32 v7, v6, v7
	s_delay_alu instid0(VALU_DEP_1) | instskip(NEXT) | instid1(VALU_DEP_1)
	v_mul_lo_u32 v8, v7, s20
	v_dual_sub_nc_u32 v6, v6, v8 :: v_dual_add_nc_u32 v8, 1, v7
	s_delay_alu instid0(VALU_DEP_1) | instskip(SKIP_1) | instid1(VALU_DEP_2)
	v_subrev_nc_u32_e32 v9, s20, v6
	v_cmp_le_u32_e32 vcc_lo, s20, v6
	v_dual_cndmask_b32 v6, v6, v9 :: v_dual_mov_b32 v9, 0
	s_delay_alu instid0(VALU_DEP_4) | instskip(NEXT) | instid1(VALU_DEP_2)
	v_cndmask_b32_e32 v7, v7, v8, vcc_lo
	v_cmp_le_u32_e32 vcc_lo, s20, v6
	s_delay_alu instid0(VALU_DEP_2) | instskip(NEXT) | instid1(VALU_DEP_1)
	v_add_nc_u32_e32 v8, 1, v7
	v_cndmask_b32_e32 v8, v7, v8, vcc_lo
.LBB3_21:
	s_or_b32 exec_lo, exec_lo, s2
	s_delay_alu instid0(VALU_DEP_1) | instskip(SKIP_1) | instid1(VALU_DEP_1)
	v_dual_mov_b32 v10, 0 :: v_dual_bitop2_b32 v11, s17, v9 bitop3:0x54
                                        ; implicit-def: $vgpr6_vgpr7
	s_mov_b32 s2, exec_lo
	v_cmpx_ne_u64_e32 0, v[10:11]
	s_xor_b32 s26, exec_lo, s2
	s_cbranch_execz .LBB3_23
; %bb.22:
	s_cvt_f32_u32 s2, s16
	s_cvt_f32_u32 s27, s17
	s_sub_nc_u64 s[34:35], 0, s[16:17]
	s_mov_b32 s39, 0
	v_dual_mov_b32 v6, v8 :: v_dual_mov_b32 v7, v10
	s_fmamk_f32 s2, s27, 0x4f800000, s2
	v_dual_mov_b32 v12, v9 :: v_dual_mov_b32 v13, v10
	v_dual_mov_b32 v17, v10 :: v_dual_mov_b32 v11, v10
	s_delay_alu instid0(SALU_CYCLE_1) | instskip(NEXT) | instid1(TRANS32_DEP_1)
	v_s_rcp_f32 s2, s2
	s_mul_f32 s2, s2, 0x5f7ffffc
	s_delay_alu instid0(SALU_CYCLE_3) | instskip(NEXT) | instid1(SALU_CYCLE_3)
	s_mul_f32 s27, s2, 0x2f800000
	s_trunc_f32 s27, s27
	s_delay_alu instid0(SALU_CYCLE_3) | instskip(SKIP_1) | instid1(SALU_CYCLE_2)
	s_fmamk_f32 s2, s27, 0xcf800000, s2
	s_cvt_u32_f32 s31, s27
	s_cvt_u32_f32 s30, s2
	s_delay_alu instid0(SALU_CYCLE_3) | instskip(NEXT) | instid1(SALU_CYCLE_1)
	s_mul_u64 s[36:37], s[34:35], s[30:31]
	s_mul_hi_u32 s41, s30, s37
	s_mul_i32 s40, s30, s37
	s_mul_hi_u32 s38, s30, s36
	s_mul_i32 s27, s31, s36
	s_add_nc_u64 s[40:41], s[38:39], s[40:41]
	s_mul_hi_u32 s2, s31, s36
	s_mul_hi_u32 s29, s31, s37
	s_add_co_u32 s27, s40, s27
	s_add_co_ci_u32 s38, s41, s2
	s_mul_i32 s36, s31, s37
	s_add_co_ci_u32 s37, s29, 0
	s_delay_alu instid0(SALU_CYCLE_1) | instskip(NEXT) | instid1(SALU_CYCLE_1)
	s_add_nc_u64 s[36:37], s[38:39], s[36:37]
	s_add_co_u32 s30, s30, s36
	s_cselect_b32 s2, -1, 0
	s_delay_alu instid0(SALU_CYCLE_1) | instskip(SKIP_1) | instid1(SALU_CYCLE_1)
	s_cmp_lg_u32 s2, 0
	s_add_co_ci_u32 s31, s31, s37
	s_mul_u64 s[34:35], s[34:35], s[30:31]
	s_delay_alu instid0(SALU_CYCLE_1)
	s_mul_hi_u32 s37, s30, s35
	s_mul_i32 s36, s30, s35
	s_mul_hi_u32 s38, s30, s34
	s_mul_i32 s27, s31, s34
	s_add_nc_u64 s[36:37], s[38:39], s[36:37]
	s_mul_hi_u32 s2, s31, s34
	s_mul_hi_u32 s29, s31, s35
	s_add_co_u32 s27, s36, s27
	s_add_co_ci_u32 s38, s37, s2
	s_mul_i32 s34, s31, s35
	s_add_co_ci_u32 s35, s29, 0
	s_delay_alu instid0(SALU_CYCLE_1) | instskip(NEXT) | instid1(SALU_CYCLE_1)
	s_add_nc_u64 s[34:35], s[38:39], s[34:35]
	s_add_co_u32 s2, s30, s34
	s_cselect_b32 s27, -1, 0
	v_nop
	v_mul_hi_u32 v16, v8, s2
	s_cmp_lg_u32 s27, 0
	s_add_co_ci_u32 s38, s31, s35
	s_mov_b64 s[30:31], 0xffffffff
	v_mul_u64_e32 v[6:7], s[38:39], v[6:7]
	s_and_b64 s[30:31], s[2:3], s[30:31]
	s_delay_alu instid0(SALU_CYCLE_1) | instskip(SKIP_1) | instid1(VALU_DEP_3)
	v_mul_u64_e32 v[14:15], s[30:31], v[12:13]
	v_mul_u64_e32 v[12:13], s[38:39], v[12:13]
	v_add_nc_u64_e32 v[6:7], v[16:17], v[6:7]
	s_delay_alu instid0(VALU_DEP_1) | instskip(NEXT) | instid1(VALU_DEP_2)
	v_add_co_u32 v6, vcc_lo, v6, v14
	v_add_co_ci_u32_e32 v10, vcc_lo, v7, v15, vcc_lo
	s_delay_alu instid0(VALU_DEP_4) | instskip(NEXT) | instid1(VALU_DEP_1)
	v_add_co_ci_u32_e32 v13, vcc_lo, 0, v13, vcc_lo
	v_add_nc_u64_e32 v[6:7], v[10:11], v[12:13]
	s_delay_alu instid0(VALU_DEP_1) | instskip(NEXT) | instid1(VALU_DEP_1)
	v_mul_u64_e32 v[6:7], s[16:17], v[6:7]
	v_sub_nc_u32_e32 v10, v9, v7
	s_delay_alu instid0(VALU_DEP_2) | instskip(NEXT) | instid1(VALU_DEP_1)
	v_sub_co_u32 v6, vcc_lo, v8, v6
	v_sub_co_ci_u32_e64 v7, null, v9, v7, vcc_lo
	s_delay_alu instid0(VALU_DEP_3) | instskip(NEXT) | instid1(VALU_DEP_3)
	v_subrev_co_ci_u32_e64 v8, null, s17, v10, vcc_lo
	v_sub_co_u32 v9, vcc_lo, v6, s16
	v_cmp_le_u32_e64 s2, s16, v6
	s_delay_alu instid0(VALU_DEP_3) | instskip(SKIP_1) | instid1(VALU_DEP_3)
	v_subrev_co_ci_u32_e64 v10, null, 0, v8, vcc_lo
	v_subrev_co_ci_u32_e64 v8, null, s17, v8, vcc_lo
	v_cndmask_b32_e64 v11, 0, -1, s2
	v_cmp_le_u32_e64 s2, s16, v9
	v_cmp_le_u32_e32 vcc_lo, s17, v7
	s_delay_alu instid0(VALU_DEP_2) | instskip(SKIP_3) | instid1(VALU_DEP_3)
	v_cndmask_b32_e64 v12, 0, -1, s2
	v_cmp_le_u32_e64 s2, s17, v10
	v_cndmask_b32_e64 v14, 0, -1, vcc_lo
	v_cmp_eq_u32_e32 vcc_lo, s17, v10
	v_cndmask_b32_e64 v13, 0, -1, s2
	s_delay_alu instid0(VALU_DEP_1) | instskip(SKIP_1) | instid1(VALU_DEP_1)
	v_cndmask_b32_e32 v10, v13, v12, vcc_lo
	v_sub_co_u32 v12, vcc_lo, v9, s16
	v_subrev_co_ci_u32_e64 v8, null, 0, v8, vcc_lo
	v_cmp_eq_u32_e32 vcc_lo, s17, v7
	v_cndmask_b32_e32 v7, v14, v11, vcc_lo
	v_cmp_ne_u32_e32 vcc_lo, 0, v10
	v_cndmask_b32_e32 v8, v9, v12, vcc_lo
	s_delay_alu instid0(VALU_DEP_3) | instskip(NEXT) | instid1(VALU_DEP_2)
	v_cmp_ne_u32_e32 vcc_lo, 0, v7
	v_cndmask_b32_e32 v6, v6, v8, vcc_lo
                                        ; implicit-def: $vgpr8_vgpr9
.LBB3_23:
	s_and_not1_saveexec_b32 s2, s26
	s_cbranch_execz .LBB3_25
; %bb.24:
	v_cvt_f32_u32_e32 v6, s16
	s_sub_co_i32 s26, 0, s16
	s_delay_alu instid0(VALU_DEP_1) | instskip(SKIP_1) | instid1(TRANS32_DEP_1)
	v_rcp_iflag_f32_e32 v6, v6
	v_nop
	v_mul_f32_e32 v6, 0x4f7ffffe, v6
	s_delay_alu instid0(VALU_DEP_1) | instskip(NEXT) | instid1(VALU_DEP_1)
	v_cvt_u32_f32_e32 v6, v6
	v_mul_lo_u32 v7, s26, v6
	s_delay_alu instid0(VALU_DEP_1) | instskip(NEXT) | instid1(VALU_DEP_1)
	v_mul_hi_u32 v7, v6, v7
	v_add_nc_u32_e32 v6, v6, v7
	s_delay_alu instid0(VALU_DEP_1) | instskip(NEXT) | instid1(VALU_DEP_1)
	v_mul_hi_u32 v6, v8, v6
	v_mul_lo_u32 v6, v6, s16
	s_delay_alu instid0(VALU_DEP_1) | instskip(NEXT) | instid1(VALU_DEP_1)
	v_sub_nc_u32_e32 v6, v8, v6
	v_subrev_nc_u32_e32 v7, s16, v6
	v_cmp_le_u32_e32 vcc_lo, s16, v6
	s_delay_alu instid0(VALU_DEP_2) | instskip(NEXT) | instid1(VALU_DEP_1)
	v_cndmask_b32_e32 v6, v6, v7, vcc_lo
	v_subrev_nc_u32_e32 v7, s16, v6
	v_cmp_le_u32_e32 vcc_lo, s16, v6
	s_delay_alu instid0(VALU_DEP_2)
	v_cndmask_b32_e32 v6, v6, v7, vcc_lo
.LBB3_25:
	s_or_b32 exec_lo, exec_lo, s2
	v_dual_mov_b32 v8, 0 :: v_dual_bitop2_b32 v9, s19, v5 bitop3:0x54
                                        ; implicit-def: $vgpr10_vgpr11
	s_mov_b32 s2, exec_lo
	s_delay_alu instid0(VALU_DEP_1)
	v_cmpx_ne_u64_e32 0, v[8:9]
	s_xor_b32 s26, exec_lo, s2
	s_cbranch_execz .LBB3_27
; %bb.26:
	s_fmamk_f32 s2, s28, 0x4f800000, s3
	s_mov_b32 s31, 0
	v_dual_mov_b32 v10, v4 :: v_dual_mov_b32 v11, v8
	s_delay_alu instid0(SALU_CYCLE_1) | instskip(SKIP_2) | instid1(TRANS32_DEP_1)
	v_s_rcp_f32 s2, s2
	v_dual_mov_b32 v12, v5 :: v_dual_mov_b32 v13, v8
	v_dual_mov_b32 v17, v8 :: v_dual_mov_b32 v9, v8
	s_mul_f32 s2, s2, 0x5f7ffffc
	s_delay_alu instid0(SALU_CYCLE_3) | instskip(NEXT) | instid1(SALU_CYCLE_3)
	s_mul_f32 s3, s2, 0x2f800000
	s_trunc_f32 s3, s3
	s_delay_alu instid0(SALU_CYCLE_3) | instskip(SKIP_1) | instid1(SALU_CYCLE_2)
	s_fmamk_f32 s2, s3, 0xcf800000, s2
	s_cvt_u32_f32 s3, s3
	s_cvt_u32_f32 s2, s2
	s_delay_alu instid0(SALU_CYCLE_3) | instskip(NEXT) | instid1(SALU_CYCLE_1)
	s_mul_u64 s[28:29], s[24:25], s[2:3]
	s_mul_hi_u32 s35, s2, s29
	s_mul_i32 s34, s2, s29
	s_mul_hi_u32 s30, s2, s28
	s_mul_i32 s33, s3, s28
	s_add_nc_u64 s[34:35], s[30:31], s[34:35]
	s_mul_hi_u32 s27, s3, s28
	s_mul_hi_u32 s36, s3, s29
	s_mul_i32 s28, s3, s29
	s_add_co_u32 s29, s34, s33
	s_add_co_ci_u32 s30, s35, s27
	s_add_co_ci_u32 s29, s36, 0
	s_delay_alu instid0(SALU_CYCLE_1) | instskip(NEXT) | instid1(SALU_CYCLE_1)
	s_add_nc_u64 s[28:29], s[30:31], s[28:29]
	s_add_co_u32 s2, s2, s28
	s_cselect_b32 s27, -1, 0
	s_delay_alu instid0(SALU_CYCLE_1) | instskip(SKIP_1) | instid1(SALU_CYCLE_1)
	s_cmp_lg_u32 s27, 0
	s_add_co_ci_u32 s3, s3, s29
	s_mul_u64 s[24:25], s[24:25], s[2:3]
	s_delay_alu instid0(SALU_CYCLE_1)
	s_mul_hi_u32 s29, s2, s25
	s_mul_i32 s28, s2, s25
	s_mul_hi_u32 s30, s2, s24
	s_mul_i32 s33, s3, s24
	s_add_nc_u64 s[28:29], s[30:31], s[28:29]
	s_mul_hi_u32 s27, s3, s24
	s_mul_hi_u32 s34, s3, s25
	s_mul_i32 s24, s3, s25
	s_add_co_u32 s25, s28, s33
	s_add_co_ci_u32 s30, s29, s27
	s_add_co_ci_u32 s25, s34, 0
	s_delay_alu instid0(SALU_CYCLE_1) | instskip(NEXT) | instid1(SALU_CYCLE_1)
	s_add_nc_u64 s[24:25], s[30:31], s[24:25]
	s_add_co_u32 s2, s2, s24
	s_cselect_b32 s24, -1, 0
	v_mul_hi_u32 v16, v4, s2
	s_cmp_lg_u32 s24, 0
	s_add_co_ci_u32 s30, s3, s25
	s_mov_b64 s[24:25], 0xffffffff
	v_mul_u64_e32 v[10:11], s[30:31], v[10:11]
	s_and_b64 s[24:25], s[2:3], s[24:25]
	s_delay_alu instid0(SALU_CYCLE_1) | instskip(SKIP_1) | instid1(VALU_DEP_3)
	v_mul_u64_e32 v[14:15], s[24:25], v[12:13]
	v_mul_u64_e32 v[12:13], s[30:31], v[12:13]
	v_add_nc_u64_e32 v[10:11], v[16:17], v[10:11]
	s_delay_alu instid0(VALU_DEP_1) | instskip(NEXT) | instid1(VALU_DEP_2)
	v_add_co_u32 v3, vcc_lo, v10, v14
	v_add_co_ci_u32_e32 v8, vcc_lo, v11, v15, vcc_lo
	s_delay_alu instid0(VALU_DEP_4) | instskip(NEXT) | instid1(VALU_DEP_1)
	v_add_co_ci_u32_e32 v13, vcc_lo, 0, v13, vcc_lo
	v_add_nc_u64_e32 v[8:9], v[8:9], v[12:13]
	s_delay_alu instid0(VALU_DEP_1) | instskip(NEXT) | instid1(VALU_DEP_1)
	v_mul_u64_e32 v[8:9], s[18:19], v[8:9]
	v_sub_nc_u32_e32 v3, v5, v9
	s_delay_alu instid0(VALU_DEP_2) | instskip(NEXT) | instid1(VALU_DEP_1)
	v_sub_co_u32 v7, vcc_lo, v4, v8
	v_sub_co_ci_u32_e64 v5, null, v5, v9, vcc_lo
	s_delay_alu instid0(VALU_DEP_3) | instskip(NEXT) | instid1(VALU_DEP_3)
	v_subrev_co_ci_u32_e64 v3, null, s19, v3, vcc_lo
	v_sub_co_u32 v8, vcc_lo, v7, s18
	v_cmp_le_u32_e64 s2, s18, v7
	s_delay_alu instid0(VALU_DEP_3) | instskip(SKIP_1) | instid1(VALU_DEP_3)
	v_subrev_co_ci_u32_e64 v9, null, 0, v3, vcc_lo
	v_subrev_co_ci_u32_e64 v3, null, s19, v3, vcc_lo
	v_cndmask_b32_e64 v10, 0, -1, s2
	v_cmp_le_u32_e64 s2, s18, v8
	v_cmp_le_u32_e32 vcc_lo, s19, v5
	s_delay_alu instid0(VALU_DEP_2) | instskip(SKIP_3) | instid1(VALU_DEP_3)
	v_cndmask_b32_e64 v11, 0, -1, s2
	v_cmp_le_u32_e64 s2, s19, v9
	v_cndmask_b32_e64 v13, 0, -1, vcc_lo
	v_cmp_eq_u32_e32 vcc_lo, s19, v9
	v_cndmask_b32_e64 v12, 0, -1, s2
	s_delay_alu instid0(VALU_DEP_1) | instskip(SKIP_1) | instid1(VALU_DEP_1)
	v_cndmask_b32_e32 v9, v12, v11, vcc_lo
	v_sub_co_u32 v11, vcc_lo, v8, s18
	v_subrev_co_ci_u32_e64 v3, null, 0, v3, vcc_lo
	v_cmp_eq_u32_e32 vcc_lo, s19, v5
	v_cndmask_b32_e32 v3, v13, v10, vcc_lo
	v_cmp_ne_u32_e32 vcc_lo, 0, v9
	v_cndmask_b32_e32 v5, v8, v11, vcc_lo
	s_delay_alu instid0(VALU_DEP_3) | instskip(NEXT) | instid1(VALU_DEP_2)
	v_cmp_ne_u32_e32 vcc_lo, 0, v3
                                        ; implicit-def: $vgpr3
	v_cndmask_b32_e32 v10, v7, v5, vcc_lo
.LBB3_27:
	s_and_not1_saveexec_b32 s2, s26
	s_cbranch_execz .LBB3_29
; %bb.28:
	v_rcp_iflag_f32_e32 v3, v3
	s_sub_co_i32 s3, 0, s18
	v_nop
	s_delay_alu instid0(TRANS32_DEP_1) | instskip(NEXT) | instid1(VALU_DEP_1)
	v_mul_f32_e32 v3, 0x4f7ffffe, v3
	v_cvt_u32_f32_e32 v3, v3
	s_delay_alu instid0(VALU_DEP_1) | instskip(NEXT) | instid1(VALU_DEP_1)
	v_mul_lo_u32 v5, s3, v3
	v_mul_hi_u32 v5, v3, v5
	s_delay_alu instid0(VALU_DEP_1) | instskip(NEXT) | instid1(VALU_DEP_1)
	v_add_nc_u32_e32 v3, v3, v5
	v_mul_hi_u32 v3, v4, v3
	s_delay_alu instid0(VALU_DEP_1) | instskip(NEXT) | instid1(VALU_DEP_1)
	v_mul_lo_u32 v3, v3, s18
	v_sub_nc_u32_e32 v3, v4, v3
	s_delay_alu instid0(VALU_DEP_1) | instskip(SKIP_1) | instid1(VALU_DEP_2)
	v_subrev_nc_u32_e32 v5, s18, v3
	v_cmp_le_u32_e32 vcc_lo, s18, v3
	v_cndmask_b32_e32 v3, v3, v5, vcc_lo
	s_delay_alu instid0(VALU_DEP_1) | instskip(SKIP_1) | instid1(VALU_DEP_2)
	v_subrev_nc_u32_e32 v5, s18, v3
	v_cmp_le_u32_e32 vcc_lo, s18, v3
	v_cndmask_b32_e32 v10, v3, v5, vcc_lo
.LBB3_29:
	s_or_b32 exec_lo, exec_lo, s2
	s_load_b96 s[0:2], s[0:1], 0x50
	v_mul_lo_u32 v3, v4, s20
	s_delay_alu instid0(VALU_DEP_2) | instskip(SKIP_1) | instid1(VALU_DEP_3)
	v_cvt_f32_i32_e32 v4, v10
	v_cvt_f32_i32_e32 v5, v6
	v_sub_nc_u32_e32 v3, v0, v3
	v_lshl_add_u64 v[0:1], v[0:1], 1, s[22:23]
	s_wait_kmcnt 0x0
	v_mul_f32_e32 v6, s1, v4
	s_delay_alu instid0(VALU_DEP_3) | instskip(SKIP_2) | instid1(SALU_CYCLE_1)
	v_cvt_f32_i32_e32 v3, v3
	v_mul_f32_e32 v5, s0, v5
	s_mul_u64 s[0:1], s[14:15], s[12:13]
	s_mul_u64 s[0:1], s[0:1], s[10:11]
	s_delay_alu instid0(VALU_DEP_2) | instskip(SKIP_1) | instid1(SALU_CYCLE_1)
	v_mul_f32_e32 v3, s2, v3
	s_mul_u64 s[2:3], s[20:21], s[18:19]
	s_mul_u64 s[2:3], s[2:3], s[16:17]
	s_delay_alu instid0(VALU_DEP_1) | instskip(SKIP_1) | instid1(SALU_CYCLE_1)
	v_floor_f32_e32 v3, v3
	s_mul_u64 s[2:3], s[2:3], s[8:9]
	s_lshl_b64 s[2:3], s[2:3], 1
	s_delay_alu instid0(VALU_DEP_1) | instskip(NEXT) | instid1(VALU_DEP_1)
	v_cvt_i32_f32_e32 v3, v3
	v_add_min_i32_e64 v4, s14, -1, v3
	v_floor_f32_e32 v3, v6
	v_floor_f32_e32 v6, v5
	s_delay_alu instid0(VALU_DEP_2) | instskip(NEXT) | instid1(VALU_DEP_2)
	v_cvt_i32_f32_e32 v3, v3
	v_cvt_i32_f32_e32 v7, v6
	s_delay_alu instid0(VALU_DEP_2) | instskip(SKIP_1) | instid1(VALU_DEP_3)
	v_add_min_i32_e64 v6, s12, -1, v3
	v_ashrrev_i32_e32 v5, 31, v4
	v_add_min_i32_e64 v3, s10, -1, v7
	v_ashrrev_i32_e32 v8, 31, v2
	s_delay_alu instid0(VALU_DEP_4) | instskip(NEXT) | instid1(VALU_DEP_4)
	v_ashrrev_i32_e32 v7, 31, v6
	v_mad_nc_u64_u32 v[4:5], v2, s0, v[4:5]
	s_delay_alu instid0(VALU_DEP_2) | instskip(NEXT) | instid1(VALU_DEP_2)
	v_mad_nc_u64_u32 v[6:7], s12, v3, v[6:7]
	v_mad_u32 v5, v8, s0, v5
	s_delay_alu instid0(VALU_DEP_2) | instskip(NEXT) | instid1(VALU_DEP_2)
	v_mad_u32 v7, s13, v3, v7
	v_mad_u32 v5, v2, s1, v5
	v_ashrrev_i32_e32 v2, 31, v3
	s_mul_u64 s[0:1], s[0:1], s[8:9]
	s_mov_b64 s[8:9], 0
	s_delay_alu instid0(VALU_DEP_1) | instskip(NEXT) | instid1(VALU_DEP_3)
	v_mad_u32 v7, s12, v2, v7
	v_mad_nc_u64_u32 v[2:3], v6, s14, v[4:5]
	s_delay_alu instid0(VALU_DEP_1) | instskip(NEXT) | instid1(VALU_DEP_1)
	v_mad_u32 v3, v7, s14, v3
	v_mad_u32 v3, v6, s15, v3
.LBB3_30:                               ; =>This Inner Loop Header: Depth=1
	s_delay_alu instid0(VALU_DEP_1)
	v_lshl_add_u64 v[4:5], v[2:3], 1, s[4:5]
	s_add_nc_u64 s[8:9], s[8:9], 1
	v_add_nc_u64_e32 v[2:3], s[0:1], v[2:3]
	v_cmp_gt_u64_e64 s10, s[6:7], s[8:9]
	global_load_u16 v4, v[4:5], off
	s_and_b32 vcc_lo, exec_lo, s10
	s_wait_loadcnt 0x0
	global_store_b16 v[0:1], v4, off
	s_wait_xcnt 0x0
	v_add_nc_u64_e32 v[0:1], s[2:3], v[0:1]
	s_cbranch_vccnz .LBB3_30
.LBB3_31:
	s_endpgm
	.section	.rodata,"a",@progbits
	.p2align	6, 0x0
	.amdhsa_kernel _ZN2at6native12_GLOBAL__N_128upsample_nearest3d_out_frameIN3c108BFloat16EXadL_ZNS0_37nearest_neighbor_compute_source_indexEfiiEEEEvPKT_mmmmmmmmPS5_fff
		.amdhsa_group_segment_fixed_size 0
		.amdhsa_private_segment_fixed_size 0
		.amdhsa_kernarg_size 352
		.amdhsa_user_sgpr_count 2
		.amdhsa_user_sgpr_dispatch_ptr 0
		.amdhsa_user_sgpr_queue_ptr 0
		.amdhsa_user_sgpr_kernarg_segment_ptr 1
		.amdhsa_user_sgpr_dispatch_id 0
		.amdhsa_user_sgpr_kernarg_preload_length 0
		.amdhsa_user_sgpr_kernarg_preload_offset 0
		.amdhsa_user_sgpr_private_segment_size 0
		.amdhsa_wavefront_size32 1
		.amdhsa_uses_dynamic_stack 0
		.amdhsa_enable_private_segment 0
		.amdhsa_system_sgpr_workgroup_id_x 1
		.amdhsa_system_sgpr_workgroup_id_y 0
		.amdhsa_system_sgpr_workgroup_id_z 0
		.amdhsa_system_sgpr_workgroup_info 0
		.amdhsa_system_vgpr_workitem_id 0
		.amdhsa_next_free_vgpr 18
		.amdhsa_next_free_sgpr 43
		.amdhsa_named_barrier_count 0
		.amdhsa_reserve_vcc 1
		.amdhsa_float_round_mode_32 0
		.amdhsa_float_round_mode_16_64 0
		.amdhsa_float_denorm_mode_32 3
		.amdhsa_float_denorm_mode_16_64 3
		.amdhsa_fp16_overflow 0
		.amdhsa_memory_ordered 1
		.amdhsa_forward_progress 1
		.amdhsa_inst_pref_size 43
		.amdhsa_round_robin_scheduling 0
		.amdhsa_exception_fp_ieee_invalid_op 0
		.amdhsa_exception_fp_denorm_src 0
		.amdhsa_exception_fp_ieee_div_zero 0
		.amdhsa_exception_fp_ieee_overflow 0
		.amdhsa_exception_fp_ieee_underflow 0
		.amdhsa_exception_fp_ieee_inexact 0
		.amdhsa_exception_int_div_zero 0
	.end_amdhsa_kernel
	.section	.text._ZN2at6native12_GLOBAL__N_128upsample_nearest3d_out_frameIN3c108BFloat16EXadL_ZNS0_37nearest_neighbor_compute_source_indexEfiiEEEEvPKT_mmmmmmmmPS5_fff,"axG",@progbits,_ZN2at6native12_GLOBAL__N_128upsample_nearest3d_out_frameIN3c108BFloat16EXadL_ZNS0_37nearest_neighbor_compute_source_indexEfiiEEEEvPKT_mmmmmmmmPS5_fff,comdat
.Lfunc_end3:
	.size	_ZN2at6native12_GLOBAL__N_128upsample_nearest3d_out_frameIN3c108BFloat16EXadL_ZNS0_37nearest_neighbor_compute_source_indexEfiiEEEEvPKT_mmmmmmmmPS5_fff, .Lfunc_end3-_ZN2at6native12_GLOBAL__N_128upsample_nearest3d_out_frameIN3c108BFloat16EXadL_ZNS0_37nearest_neighbor_compute_source_indexEfiiEEEEvPKT_mmmmmmmmPS5_fff
                                        ; -- End function
	.set _ZN2at6native12_GLOBAL__N_128upsample_nearest3d_out_frameIN3c108BFloat16EXadL_ZNS0_37nearest_neighbor_compute_source_indexEfiiEEEEvPKT_mmmmmmmmPS5_fff.num_vgpr, 18
	.set _ZN2at6native12_GLOBAL__N_128upsample_nearest3d_out_frameIN3c108BFloat16EXadL_ZNS0_37nearest_neighbor_compute_source_indexEfiiEEEEvPKT_mmmmmmmmPS5_fff.num_agpr, 0
	.set _ZN2at6native12_GLOBAL__N_128upsample_nearest3d_out_frameIN3c108BFloat16EXadL_ZNS0_37nearest_neighbor_compute_source_indexEfiiEEEEvPKT_mmmmmmmmPS5_fff.numbered_sgpr, 43
	.set _ZN2at6native12_GLOBAL__N_128upsample_nearest3d_out_frameIN3c108BFloat16EXadL_ZNS0_37nearest_neighbor_compute_source_indexEfiiEEEEvPKT_mmmmmmmmPS5_fff.num_named_barrier, 0
	.set _ZN2at6native12_GLOBAL__N_128upsample_nearest3d_out_frameIN3c108BFloat16EXadL_ZNS0_37nearest_neighbor_compute_source_indexEfiiEEEEvPKT_mmmmmmmmPS5_fff.private_seg_size, 0
	.set _ZN2at6native12_GLOBAL__N_128upsample_nearest3d_out_frameIN3c108BFloat16EXadL_ZNS0_37nearest_neighbor_compute_source_indexEfiiEEEEvPKT_mmmmmmmmPS5_fff.uses_vcc, 1
	.set _ZN2at6native12_GLOBAL__N_128upsample_nearest3d_out_frameIN3c108BFloat16EXadL_ZNS0_37nearest_neighbor_compute_source_indexEfiiEEEEvPKT_mmmmmmmmPS5_fff.uses_flat_scratch, 0
	.set _ZN2at6native12_GLOBAL__N_128upsample_nearest3d_out_frameIN3c108BFloat16EXadL_ZNS0_37nearest_neighbor_compute_source_indexEfiiEEEEvPKT_mmmmmmmmPS5_fff.has_dyn_sized_stack, 0
	.set _ZN2at6native12_GLOBAL__N_128upsample_nearest3d_out_frameIN3c108BFloat16EXadL_ZNS0_37nearest_neighbor_compute_source_indexEfiiEEEEvPKT_mmmmmmmmPS5_fff.has_recursion, 0
	.set _ZN2at6native12_GLOBAL__N_128upsample_nearest3d_out_frameIN3c108BFloat16EXadL_ZNS0_37nearest_neighbor_compute_source_indexEfiiEEEEvPKT_mmmmmmmmPS5_fff.has_indirect_call, 0
	.section	.AMDGPU.csdata,"",@progbits
; Kernel info:
; codeLenInByte = 5392
; TotalNumSgprs: 45
; NumVgprs: 18
; ScratchSize: 0
; MemoryBound: 0
; FloatMode: 240
; IeeeMode: 1
; LDSByteSize: 0 bytes/workgroup (compile time only)
; SGPRBlocks: 0
; VGPRBlocks: 1
; NumSGPRsForWavesPerEU: 45
; NumVGPRsForWavesPerEU: 18
; NamedBarCnt: 0
; Occupancy: 16
; WaveLimiterHint : 0
; COMPUTE_PGM_RSRC2:SCRATCH_EN: 0
; COMPUTE_PGM_RSRC2:USER_SGPR: 2
; COMPUTE_PGM_RSRC2:TRAP_HANDLER: 0
; COMPUTE_PGM_RSRC2:TGID_X_EN: 1
; COMPUTE_PGM_RSRC2:TGID_Y_EN: 0
; COMPUTE_PGM_RSRC2:TGID_Z_EN: 0
; COMPUTE_PGM_RSRC2:TIDIG_COMP_CNT: 0
	.section	.text._ZN2at6native12_GLOBAL__N_128upsample_nearest3d_out_frameIhXadL_ZNS0_37nearest_neighbor_compute_source_indexEfiiEEEEvPKT_mmmmmmmmPS3_fff,"axG",@progbits,_ZN2at6native12_GLOBAL__N_128upsample_nearest3d_out_frameIhXadL_ZNS0_37nearest_neighbor_compute_source_indexEfiiEEEEvPKT_mmmmmmmmPS3_fff,comdat
	.globl	_ZN2at6native12_GLOBAL__N_128upsample_nearest3d_out_frameIhXadL_ZNS0_37nearest_neighbor_compute_source_indexEfiiEEEEvPKT_mmmmmmmmPS3_fff ; -- Begin function _ZN2at6native12_GLOBAL__N_128upsample_nearest3d_out_frameIhXadL_ZNS0_37nearest_neighbor_compute_source_indexEfiiEEEEvPKT_mmmmmmmmPS3_fff
	.p2align	8
	.type	_ZN2at6native12_GLOBAL__N_128upsample_nearest3d_out_frameIhXadL_ZNS0_37nearest_neighbor_compute_source_indexEfiiEEEEvPKT_mmmmmmmmPS3_fff,@function
_ZN2at6native12_GLOBAL__N_128upsample_nearest3d_out_frameIhXadL_ZNS0_37nearest_neighbor_compute_source_indexEfiiEEEEvPKT_mmmmmmmmPS3_fff: ; @_ZN2at6native12_GLOBAL__N_128upsample_nearest3d_out_frameIhXadL_ZNS0_37nearest_neighbor_compute_source_indexEfiiEEEEvPKT_mmmmmmmmPS3_fff
; %bb.0:
	s_clause 0x2
	s_load_b32 s2, s[0:1], 0x6c
	s_load_b512 s[4:19], s[0:1], 0x0
	s_load_b128 s[20:23], s[0:1], 0x40
	s_bfe_u32 s3, ttmp6, 0x4000c
	v_mov_b32_e32 v2, 0
	s_add_co_i32 s3, s3, 1
	s_and_b32 s24, ttmp6, 15
	s_mul_i32 s3, ttmp9, s3
	s_getreg_b32 s25, hwreg(HW_REG_IB_STS2, 6, 4)
	v_mov_b32_e32 v1, v2
	s_add_co_i32 s24, s24, s3
	s_wait_kmcnt 0x0
	s_and_b32 s2, s2, 0xffff
	s_cmp_eq_u32 s25, 0
	s_cselect_b32 s3, ttmp9, s24
	s_cmp_lg_u64 s[6:7], 0
	v_mad_nc_u64_u32 v[0:1], s2, s3, v[0:1]
	s_mul_u64 s[2:3], s[18:19], s[16:17]
	s_cselect_b32 s26, -1, 0
	s_mul_u64 s[24:25], s[2:3], s[8:9]
	s_delay_alu instid0(SALU_CYCLE_1)
	s_mul_u64 s[24:25], s[24:25], s[20:21]
	s_delay_alu instid0(VALU_DEP_1) | instid1(SALU_CYCLE_1)
	v_cmp_gt_u64_e32 vcc_lo, s[24:25], v[0:1]
	s_and_b32 s26, vcc_lo, s26
	s_delay_alu instid0(SALU_CYCLE_1)
	s_and_saveexec_b32 s27, s26
	s_cbranch_execz .LBB4_31
; %bb.1:
	s_mul_u64 s[26:27], s[2:3], s[20:21]
                                        ; implicit-def: $vgpr4_vgpr5
	s_mov_b32 s2, exec_lo
	v_or_b32_e32 v3, s27, v1
	s_delay_alu instid0(VALU_DEP_1)
	v_cmpx_ne_u64_e32 0, v[2:3]
	s_xor_b32 s3, exec_lo, s2
	s_cbranch_execz .LBB4_3
; %bb.2:
	s_ashr_i32 s28, s27, 31
	s_mov_b32 s41, 0
	s_mov_b32 s29, s28
	v_dual_mov_b32 v7, 0 :: v_dual_ashrrev_i32 v2, 31, v1
	s_add_nc_u64 s[30:31], s[26:27], s[28:29]
	s_delay_alu instid0(SALU_CYCLE_1) | instskip(NEXT) | instid1(VALU_DEP_1)
	s_xor_b64 s[30:31], s[30:31], s[28:29]
	v_mov_b32_e32 v3, v2
	s_cvt_f32_u32 s2, s30
	s_cvt_f32_u32 s27, s31
	s_sub_nc_u64 s[36:37], 0, s[30:31]
	s_delay_alu instid0(VALU_DEP_1) | instskip(NEXT) | instid1(SALU_CYCLE_1)
	v_add_nc_u64_e32 v[4:5], v[0:1], v[2:3]
	s_fmamk_f32 s2, s27, 0x4f800000, s2
	v_mov_b32_e32 v9, v7
	s_delay_alu instid0(SALU_CYCLE_2) | instskip(NEXT) | instid1(VALU_DEP_2)
	v_s_rcp_f32 s2, s2
	v_xor_b32_e32 v6, v4, v2
	s_delay_alu instid0(VALU_DEP_3) | instskip(SKIP_1) | instid1(TRANS32_DEP_1)
	v_dual_mov_b32 v15, v7 :: v_dual_bitop2_b32 v8, v5, v2 bitop3:0x14
	v_xor_b32_e32 v2, s28, v2
	s_mul_f32 s2, s2, 0x5f7ffffc
	s_delay_alu instid0(SALU_CYCLE_3) | instskip(NEXT) | instid1(SALU_CYCLE_3)
	s_mul_f32 s27, s2, 0x2f800000
	s_trunc_f32 s27, s27
	s_delay_alu instid0(SALU_CYCLE_3) | instskip(SKIP_1) | instid1(SALU_CYCLE_2)
	s_fmamk_f32 s2, s27, 0xcf800000, s2
	s_cvt_u32_f32 s35, s27
	s_cvt_u32_f32 s34, s2
	s_delay_alu instid0(SALU_CYCLE_3) | instskip(NEXT) | instid1(SALU_CYCLE_1)
	s_mul_u64 s[38:39], s[36:37], s[34:35]
	s_mul_hi_u32 s43, s34, s39
	s_mul_i32 s42, s34, s39
	s_mul_hi_u32 s40, s34, s38
	s_mul_i32 s27, s35, s38
	s_add_nc_u64 s[42:43], s[40:41], s[42:43]
	s_mul_hi_u32 s2, s35, s38
	s_mul_hi_u32 s29, s35, s39
	s_add_co_u32 s27, s42, s27
	s_add_co_ci_u32 s40, s43, s2
	s_mul_i32 s38, s35, s39
	s_add_co_ci_u32 s39, s29, 0
	s_delay_alu instid0(SALU_CYCLE_1) | instskip(NEXT) | instid1(SALU_CYCLE_1)
	s_add_nc_u64 s[38:39], s[40:41], s[38:39]
	s_add_co_u32 s34, s34, s38
	s_cselect_b32 s2, -1, 0
	s_delay_alu instid0(SALU_CYCLE_1) | instskip(SKIP_1) | instid1(SALU_CYCLE_1)
	s_cmp_lg_u32 s2, 0
	s_add_co_ci_u32 s35, s35, s39
	s_mul_u64 s[36:37], s[36:37], s[34:35]
	s_delay_alu instid0(SALU_CYCLE_1)
	s_mul_hi_u32 s39, s34, s37
	s_mul_i32 s38, s34, s37
	s_mul_hi_u32 s40, s34, s36
	s_mul_i32 s27, s35, s36
	s_add_nc_u64 s[38:39], s[40:41], s[38:39]
	s_mul_hi_u32 s2, s35, s36
	s_mul_hi_u32 s29, s35, s37
	s_add_co_u32 s27, s38, s27
	s_add_co_ci_u32 s40, s39, s2
	s_mul_i32 s36, s35, s37
	s_add_co_ci_u32 s37, s29, 0
	s_delay_alu instid0(SALU_CYCLE_1) | instskip(NEXT) | instid1(SALU_CYCLE_1)
	s_add_nc_u64 s[36:37], s[40:41], s[36:37]
	s_add_co_u32 s2, s34, s36
	s_cselect_b32 s27, -1, 0
	v_mul_hi_u32 v14, v6, s2
	s_cmp_lg_u32 s27, 0
	s_add_co_ci_u32 s40, s35, s37
	s_mov_b64 s[34:35], 0xffffffff
	v_mul_u64_e32 v[10:11], s[40:41], v[6:7]
	s_and_b64 s[34:35], s[2:3], s[34:35]
	v_mul_u64_e32 v[12:13], s[40:41], v[8:9]
	v_mul_u64_e32 v[4:5], s[34:35], v[8:9]
	s_delay_alu instid0(VALU_DEP_3) | instskip(NEXT) | instid1(VALU_DEP_1)
	v_add_nc_u64_e32 v[10:11], v[14:15], v[10:11]
	v_add_co_u32 v3, vcc_lo, v10, v4
	s_delay_alu instid0(VALU_DEP_2) | instskip(SKIP_1) | instid1(VALU_DEP_1)
	v_add_co_ci_u32_e32 v14, vcc_lo, v11, v5, vcc_lo
	v_add_co_ci_u32_e32 v13, vcc_lo, 0, v13, vcc_lo
	v_add_nc_u64_e32 v[4:5], v[14:15], v[12:13]
	s_delay_alu instid0(VALU_DEP_1) | instskip(NEXT) | instid1(VALU_DEP_1)
	v_mul_u64_e32 v[10:11], s[30:31], v[4:5]
	v_sub_nc_u32_e32 v3, v8, v11
	s_delay_alu instid0(VALU_DEP_2) | instskip(NEXT) | instid1(VALU_DEP_1)
	v_sub_co_u32 v6, vcc_lo, v6, v10
	v_sub_co_ci_u32_e64 v10, null, v8, v11, vcc_lo
	s_delay_alu instid0(VALU_DEP_3) | instskip(NEXT) | instid1(VALU_DEP_3)
	v_subrev_co_ci_u32_e64 v3, null, s31, v3, vcc_lo
	v_sub_co_u32 v7, s2, v6, s30
	s_delay_alu instid0(VALU_DEP_1) | instskip(NEXT) | instid1(VALU_DEP_2)
	v_subrev_co_ci_u32_e64 v3, null, 0, v3, s2
	v_cmp_le_u32_e32 vcc_lo, s30, v7
	v_cndmask_b32_e64 v7, 0, -1, vcc_lo
	s_delay_alu instid0(VALU_DEP_3)
	v_cmp_le_u32_e32 vcc_lo, s31, v3
	v_cndmask_b32_e64 v8, 0, -1, vcc_lo
	v_cmp_le_u32_e32 vcc_lo, s30, v6
	v_cndmask_b32_e64 v11, 0, -1, vcc_lo
	;; [unrolled: 2-line block ×3, first 2 shown]
	v_cmp_eq_u32_e32 vcc_lo, s31, v3
	v_cndmask_b32_e32 v3, v8, v7, vcc_lo
	v_cmp_eq_u32_e32 vcc_lo, s31, v10
	v_add_nc_u64_e32 v[6:7], 2, v[4:5]
	v_add_nc_u64_e32 v[8:9], 1, v[4:5]
	v_cndmask_b32_e32 v10, v12, v11, vcc_lo
	v_cmp_ne_u32_e32 vcc_lo, 0, v3
	s_delay_alu instid0(VALU_DEP_2) | instskip(NEXT) | instid1(VALU_DEP_4)
	v_cmp_ne_u32_e64 s2, 0, v10
	v_dual_cndmask_b32 v6, v8, v6 :: v_dual_cndmask_b32 v3, v9, v7
	s_delay_alu instid0(VALU_DEP_1) | instskip(NEXT) | instid1(VALU_DEP_1)
	v_dual_cndmask_b32 v4, v4, v6, s2 :: v_dual_cndmask_b32 v5, v5, v3, s2
	v_dual_mov_b32 v3, v2 :: v_dual_bitop2_b32 v4, v4, v2 bitop3:0x14
	s_delay_alu instid0(VALU_DEP_2) | instskip(NEXT) | instid1(VALU_DEP_1)
	v_xor_b32_e32 v5, v5, v2
	v_sub_nc_u64_e32 v[4:5], v[4:5], v[2:3]
.LBB4_3:
	s_and_not1_saveexec_b32 s2, s3
	s_cbranch_execz .LBB4_5
; %bb.4:
	v_cvt_f32_u32_e32 v2, s26
	s_sub_co_i32 s3, 0, s26
	s_delay_alu instid0(VALU_DEP_1) | instskip(SKIP_1) | instid1(TRANS32_DEP_1)
	v_rcp_iflag_f32_e32 v2, v2
	v_nop
	v_mul_f32_e32 v2, 0x4f7ffffe, v2
	s_delay_alu instid0(VALU_DEP_1) | instskip(NEXT) | instid1(VALU_DEP_1)
	v_cvt_u32_f32_e32 v2, v2
	v_mul_lo_u32 v3, s3, v2
	s_delay_alu instid0(VALU_DEP_1) | instskip(NEXT) | instid1(VALU_DEP_1)
	v_mul_hi_u32 v3, v2, v3
	v_add_nc_u32_e32 v2, v2, v3
	s_delay_alu instid0(VALU_DEP_1) | instskip(NEXT) | instid1(VALU_DEP_1)
	v_mul_hi_u32 v2, v0, v2
	v_mul_lo_u32 v3, v2, s26
	s_delay_alu instid0(VALU_DEP_1) | instskip(NEXT) | instid1(VALU_DEP_1)
	v_dual_add_nc_u32 v4, 1, v2 :: v_dual_sub_nc_u32 v3, v0, v3
	v_subrev_nc_u32_e32 v5, s26, v3
	v_cmp_le_u32_e32 vcc_lo, s26, v3
	s_delay_alu instid0(VALU_DEP_2) | instskip(NEXT) | instid1(VALU_DEP_4)
	v_dual_cndmask_b32 v3, v3, v5, vcc_lo :: v_dual_mov_b32 v5, 0
	v_cndmask_b32_e32 v2, v2, v4, vcc_lo
	s_delay_alu instid0(VALU_DEP_2) | instskip(NEXT) | instid1(VALU_DEP_2)
	v_cmp_le_u32_e32 vcc_lo, s26, v3
	v_add_nc_u32_e32 v4, 1, v2
	s_delay_alu instid0(VALU_DEP_1)
	v_cndmask_b32_e32 v4, v2, v4, vcc_lo
.LBB4_5:
	s_or_b32 exec_lo, exec_lo, s2
	s_delay_alu instid0(VALU_DEP_1) | instskip(SKIP_1) | instid1(VALU_DEP_1)
	v_dual_mov_b32 v6, 0 :: v_dual_bitop2_b32 v7, s9, v5 bitop3:0x54
                                        ; implicit-def: $vgpr2_vgpr3
	s_mov_b32 s2, exec_lo
	v_cmpx_ne_u64_e32 0, v[6:7]
	s_xor_b32 s3, exec_lo, s2
	s_cbranch_execz .LBB4_7
; %bb.6:
	s_cvt_f32_u32 s2, s8
	s_cvt_f32_u32 s26, s9
	s_sub_nc_u64 s[28:29], 0, s[8:9]
	s_mov_b32 s35, 0
	v_dual_mov_b32 v2, v4 :: v_dual_mov_b32 v3, v6
	s_fmamk_f32 s2, s26, 0x4f800000, s2
	v_dual_mov_b32 v8, v5 :: v_dual_mov_b32 v9, v6
	v_dual_mov_b32 v13, v6 :: v_dual_mov_b32 v7, v6
	s_delay_alu instid0(SALU_CYCLE_1) | instskip(NEXT) | instid1(TRANS32_DEP_1)
	v_s_rcp_f32 s2, s2
	s_mul_f32 s2, s2, 0x5f7ffffc
	s_delay_alu instid0(SALU_CYCLE_3) | instskip(NEXT) | instid1(SALU_CYCLE_3)
	s_mul_f32 s26, s2, 0x2f800000
	s_trunc_f32 s26, s26
	s_delay_alu instid0(SALU_CYCLE_3) | instskip(SKIP_1) | instid1(SALU_CYCLE_2)
	s_fmamk_f32 s2, s26, 0xcf800000, s2
	s_cvt_u32_f32 s27, s26
	s_cvt_u32_f32 s26, s2
	s_delay_alu instid0(SALU_CYCLE_3) | instskip(NEXT) | instid1(SALU_CYCLE_1)
	s_mul_u64 s[30:31], s[28:29], s[26:27]
	s_mul_hi_u32 s37, s26, s31
	s_mul_i32 s36, s26, s31
	s_mul_hi_u32 s34, s26, s30
	s_mul_i32 s33, s27, s30
	s_add_nc_u64 s[36:37], s[34:35], s[36:37]
	s_mul_hi_u32 s2, s27, s30
	s_mul_hi_u32 s38, s27, s31
	s_mul_i32 s30, s27, s31
	s_add_co_u32 s31, s36, s33
	s_add_co_ci_u32 s34, s37, s2
	s_add_co_ci_u32 s31, s38, 0
	s_delay_alu instid0(SALU_CYCLE_1) | instskip(NEXT) | instid1(SALU_CYCLE_1)
	s_add_nc_u64 s[30:31], s[34:35], s[30:31]
	s_add_co_u32 s26, s26, s30
	s_cselect_b32 s2, -1, 0
	s_delay_alu instid0(SALU_CYCLE_1) | instskip(SKIP_1) | instid1(SALU_CYCLE_1)
	s_cmp_lg_u32 s2, 0
	s_add_co_ci_u32 s27, s27, s31
	s_mul_u64 s[28:29], s[28:29], s[26:27]
	s_delay_alu instid0(SALU_CYCLE_1)
	s_mul_hi_u32 s31, s26, s29
	s_mul_i32 s30, s26, s29
	s_mul_hi_u32 s34, s26, s28
	s_mul_i32 s33, s27, s28
	s_add_nc_u64 s[30:31], s[34:35], s[30:31]
	s_mul_hi_u32 s2, s27, s28
	s_mul_hi_u32 s36, s27, s29
	s_mul_i32 s28, s27, s29
	s_add_co_u32 s29, s30, s33
	s_add_co_ci_u32 s34, s31, s2
	s_add_co_ci_u32 s29, s36, 0
	s_delay_alu instid0(SALU_CYCLE_1) | instskip(NEXT) | instid1(SALU_CYCLE_1)
	s_add_nc_u64 s[28:29], s[34:35], s[28:29]
	s_add_co_u32 s2, s26, s28
	s_cselect_b32 s26, -1, 0
	v_nop
	v_mul_hi_u32 v12, v4, s2
	s_cmp_lg_u32 s26, 0
	s_add_co_ci_u32 s34, s27, s29
	s_mov_b64 s[26:27], 0xffffffff
	v_mul_u64_e32 v[2:3], s[34:35], v[2:3]
	s_and_b64 s[26:27], s[2:3], s[26:27]
	s_delay_alu instid0(SALU_CYCLE_1) | instskip(SKIP_1) | instid1(VALU_DEP_3)
	v_mul_u64_e32 v[10:11], s[26:27], v[8:9]
	v_mul_u64_e32 v[8:9], s[34:35], v[8:9]
	v_add_nc_u64_e32 v[2:3], v[12:13], v[2:3]
	s_delay_alu instid0(VALU_DEP_1) | instskip(NEXT) | instid1(VALU_DEP_2)
	v_add_co_u32 v2, vcc_lo, v2, v10
	v_add_co_ci_u32_e32 v6, vcc_lo, v3, v11, vcc_lo
	s_delay_alu instid0(VALU_DEP_4) | instskip(NEXT) | instid1(VALU_DEP_1)
	v_add_co_ci_u32_e32 v9, vcc_lo, 0, v9, vcc_lo
	v_add_nc_u64_e32 v[2:3], v[6:7], v[8:9]
	s_delay_alu instid0(VALU_DEP_1) | instskip(NEXT) | instid1(VALU_DEP_1)
	v_mul_u64_e32 v[2:3], s[8:9], v[2:3]
	v_sub_nc_u32_e32 v6, v5, v3
	s_delay_alu instid0(VALU_DEP_2) | instskip(NEXT) | instid1(VALU_DEP_1)
	v_sub_co_u32 v2, vcc_lo, v4, v2
	v_sub_co_ci_u32_e64 v3, null, v5, v3, vcc_lo
	s_delay_alu instid0(VALU_DEP_3) | instskip(NEXT) | instid1(VALU_DEP_3)
	v_subrev_co_ci_u32_e64 v4, null, s9, v6, vcc_lo
	v_sub_co_u32 v5, vcc_lo, v2, s8
	v_cmp_le_u32_e64 s2, s8, v2
	s_delay_alu instid0(VALU_DEP_3) | instskip(SKIP_1) | instid1(VALU_DEP_3)
	v_subrev_co_ci_u32_e64 v6, null, 0, v4, vcc_lo
	v_subrev_co_ci_u32_e64 v4, null, s9, v4, vcc_lo
	v_cndmask_b32_e64 v7, 0, -1, s2
	v_cmp_le_u32_e64 s2, s8, v5
	v_cmp_le_u32_e32 vcc_lo, s9, v3
	s_delay_alu instid0(VALU_DEP_2) | instskip(SKIP_3) | instid1(VALU_DEP_3)
	v_cndmask_b32_e64 v8, 0, -1, s2
	v_cmp_le_u32_e64 s2, s9, v6
	v_cndmask_b32_e64 v10, 0, -1, vcc_lo
	v_cmp_eq_u32_e32 vcc_lo, s9, v6
	v_cndmask_b32_e64 v9, 0, -1, s2
	s_delay_alu instid0(VALU_DEP_1) | instskip(SKIP_1) | instid1(VALU_DEP_1)
	v_cndmask_b32_e32 v6, v9, v8, vcc_lo
	v_sub_co_u32 v8, vcc_lo, v5, s8
	v_subrev_co_ci_u32_e64 v4, null, 0, v4, vcc_lo
	v_cmp_eq_u32_e32 vcc_lo, s9, v3
	v_cndmask_b32_e32 v3, v10, v7, vcc_lo
	v_cmp_ne_u32_e32 vcc_lo, 0, v6
	v_cndmask_b32_e32 v4, v5, v8, vcc_lo
	s_delay_alu instid0(VALU_DEP_3) | instskip(NEXT) | instid1(VALU_DEP_2)
	v_cmp_ne_u32_e32 vcc_lo, 0, v3
	v_cndmask_b32_e32 v2, v2, v4, vcc_lo
                                        ; implicit-def: $vgpr4_vgpr5
.LBB4_7:
	s_and_not1_saveexec_b32 s2, s3
	s_cbranch_execz .LBB4_9
; %bb.8:
	v_cvt_f32_u32_e32 v2, s8
	s_sub_co_i32 s3, 0, s8
	s_delay_alu instid0(VALU_DEP_1) | instskip(SKIP_1) | instid1(TRANS32_DEP_1)
	v_rcp_iflag_f32_e32 v2, v2
	v_nop
	v_mul_f32_e32 v2, 0x4f7ffffe, v2
	s_delay_alu instid0(VALU_DEP_1) | instskip(NEXT) | instid1(VALU_DEP_1)
	v_cvt_u32_f32_e32 v2, v2
	v_mul_lo_u32 v3, s3, v2
	s_delay_alu instid0(VALU_DEP_1) | instskip(NEXT) | instid1(VALU_DEP_1)
	v_mul_hi_u32 v3, v2, v3
	v_add_nc_u32_e32 v2, v2, v3
	s_delay_alu instid0(VALU_DEP_1) | instskip(NEXT) | instid1(VALU_DEP_1)
	v_mul_hi_u32 v2, v4, v2
	v_mul_lo_u32 v2, v2, s8
	s_delay_alu instid0(VALU_DEP_1) | instskip(NEXT) | instid1(VALU_DEP_1)
	v_sub_nc_u32_e32 v2, v4, v2
	v_subrev_nc_u32_e32 v3, s8, v2
	v_cmp_le_u32_e32 vcc_lo, s8, v2
	s_delay_alu instid0(VALU_DEP_2) | instskip(NEXT) | instid1(VALU_DEP_1)
	v_cndmask_b32_e32 v2, v2, v3, vcc_lo
	v_subrev_nc_u32_e32 v3, s8, v2
	v_cmp_le_u32_e32 vcc_lo, s8, v2
	s_delay_alu instid0(VALU_DEP_2)
	v_cndmask_b32_e32 v2, v2, v3, vcc_lo
.LBB4_9:
	s_or_b32 exec_lo, exec_lo, s2
	v_dual_mov_b32 v6, 0 :: v_dual_bitop2_b32 v7, s21, v1 bitop3:0x54
	s_cvt_f32_u32 s31, s20
	s_cvt_f32_u32 s33, s21
	s_sub_nc_u64 s[28:29], 0, s[20:21]
                                        ; implicit-def: $vgpr4_vgpr5
	s_mov_b32 s2, exec_lo
	v_cmpx_ne_u64_e32 0, v[6:7]
	s_xor_b32 s3, exec_lo, s2
	s_cbranch_execz .LBB4_11
; %bb.10:
	s_fmamk_f32 s2, s33, 0x4f800000, s31
	s_mov_b32 s37, 0
	v_dual_mov_b32 v4, v0 :: v_dual_mov_b32 v5, v6
	s_delay_alu instid0(SALU_CYCLE_1) | instskip(SKIP_2) | instid1(TRANS32_DEP_1)
	v_s_rcp_f32 s2, s2
	v_dual_mov_b32 v8, v1 :: v_dual_mov_b32 v9, v6
	v_dual_mov_b32 v13, v6 :: v_dual_mov_b32 v7, v6
	s_mul_f32 s2, s2, 0x5f7ffffc
	s_delay_alu instid0(SALU_CYCLE_3) | instskip(NEXT) | instid1(SALU_CYCLE_3)
	s_mul_f32 s26, s2, 0x2f800000
	s_trunc_f32 s26, s26
	s_delay_alu instid0(SALU_CYCLE_3) | instskip(SKIP_1) | instid1(SALU_CYCLE_2)
	s_fmamk_f32 s2, s26, 0xcf800000, s2
	s_cvt_u32_f32 s27, s26
	s_cvt_u32_f32 s26, s2
	s_delay_alu instid0(SALU_CYCLE_3) | instskip(NEXT) | instid1(SALU_CYCLE_1)
	s_mul_u64 s[34:35], s[28:29], s[26:27]
	s_mul_hi_u32 s39, s26, s35
	s_mul_i32 s38, s26, s35
	s_mul_hi_u32 s36, s26, s34
	s_mul_i32 s30, s27, s34
	s_add_nc_u64 s[38:39], s[36:37], s[38:39]
	s_mul_hi_u32 s2, s27, s34
	s_mul_hi_u32 s40, s27, s35
	s_add_co_u32 s30, s38, s30
	s_add_co_ci_u32 s36, s39, s2
	s_mul_i32 s34, s27, s35
	s_add_co_ci_u32 s35, s40, 0
	s_delay_alu instid0(SALU_CYCLE_1) | instskip(NEXT) | instid1(SALU_CYCLE_1)
	s_add_nc_u64 s[34:35], s[36:37], s[34:35]
	s_add_co_u32 s26, s26, s34
	s_cselect_b32 s2, -1, 0
	s_delay_alu instid0(SALU_CYCLE_1) | instskip(SKIP_1) | instid1(SALU_CYCLE_1)
	s_cmp_lg_u32 s2, 0
	s_add_co_ci_u32 s27, s27, s35
	s_mul_u64 s[34:35], s[28:29], s[26:27]
	s_delay_alu instid0(SALU_CYCLE_1)
	s_mul_hi_u32 s39, s26, s35
	s_mul_i32 s38, s26, s35
	s_mul_hi_u32 s36, s26, s34
	s_mul_i32 s30, s27, s34
	s_add_nc_u64 s[38:39], s[36:37], s[38:39]
	s_mul_hi_u32 s2, s27, s34
	s_mul_hi_u32 s40, s27, s35
	s_add_co_u32 s30, s38, s30
	s_add_co_ci_u32 s36, s39, s2
	s_mul_i32 s34, s27, s35
	s_add_co_ci_u32 s35, s40, 0
	s_delay_alu instid0(SALU_CYCLE_1) | instskip(NEXT) | instid1(SALU_CYCLE_1)
	s_add_nc_u64 s[34:35], s[36:37], s[34:35]
	s_add_co_u32 s2, s26, s34
	s_cselect_b32 s26, -1, 0
	v_mul_hi_u32 v12, v0, s2
	s_cmp_lg_u32 s26, 0
	s_add_co_ci_u32 s36, s27, s35
	s_mov_b64 s[26:27], 0xffffffff
	v_mul_u64_e32 v[4:5], s[36:37], v[4:5]
	s_and_b64 s[26:27], s[2:3], s[26:27]
	s_delay_alu instid0(SALU_CYCLE_1) | instskip(SKIP_1) | instid1(VALU_DEP_3)
	v_mul_u64_e32 v[10:11], s[26:27], v[8:9]
	v_mul_u64_e32 v[8:9], s[36:37], v[8:9]
	v_add_nc_u64_e32 v[4:5], v[12:13], v[4:5]
	s_delay_alu instid0(VALU_DEP_1) | instskip(NEXT) | instid1(VALU_DEP_2)
	v_add_co_u32 v3, vcc_lo, v4, v10
	v_add_co_ci_u32_e32 v6, vcc_lo, v5, v11, vcc_lo
	s_delay_alu instid0(VALU_DEP_4) | instskip(NEXT) | instid1(VALU_DEP_1)
	v_add_co_ci_u32_e32 v9, vcc_lo, 0, v9, vcc_lo
	v_add_nc_u64_e32 v[4:5], v[6:7], v[8:9]
	s_delay_alu instid0(VALU_DEP_1) | instskip(SKIP_1) | instid1(VALU_DEP_2)
	v_mul_u64_e32 v[6:7], s[20:21], v[4:5]
	v_add_nc_u64_e32 v[8:9], 2, v[4:5]
	v_sub_nc_u32_e32 v3, v1, v7
	s_delay_alu instid0(VALU_DEP_3) | instskip(NEXT) | instid1(VALU_DEP_1)
	v_sub_co_u32 v6, vcc_lo, v0, v6
	v_sub_co_ci_u32_e64 v12, null, v1, v7, vcc_lo
	s_delay_alu instid0(VALU_DEP_3) | instskip(NEXT) | instid1(VALU_DEP_3)
	v_subrev_co_ci_u32_e64 v3, null, s21, v3, vcc_lo
	v_sub_co_u32 v10, s2, v6, s20
	v_cmp_le_u32_e32 vcc_lo, s20, v6
	s_delay_alu instid0(VALU_DEP_3) | instskip(NEXT) | instid1(VALU_DEP_3)
	v_subrev_co_ci_u32_e64 v3, null, 0, v3, s2
	v_cmp_le_u32_e64 s2, s20, v10
	v_add_nc_u64_e32 v[6:7], 1, v[4:5]
	v_cndmask_b32_e64 v13, 0, -1, vcc_lo
	s_delay_alu instid0(VALU_DEP_4) | instskip(NEXT) | instid1(VALU_DEP_4)
	v_cmp_eq_u32_e32 vcc_lo, s21, v3
	v_cndmask_b32_e64 v10, 0, -1, s2
	v_cmp_le_u32_e64 s2, s21, v3
	s_delay_alu instid0(VALU_DEP_1) | instskip(SKIP_1) | instid1(VALU_DEP_2)
	v_cndmask_b32_e64 v11, 0, -1, s2
	v_cmp_eq_u32_e64 s2, s21, v12
	v_cndmask_b32_e32 v3, v11, v10, vcc_lo
	v_cmp_le_u32_e32 vcc_lo, s21, v12
	v_cndmask_b32_e64 v10, 0, -1, vcc_lo
	s_delay_alu instid0(VALU_DEP_3) | instskip(SKIP_1) | instid1(VALU_DEP_3)
	v_cmp_ne_u32_e32 vcc_lo, 0, v3
	v_cndmask_b32_e32 v7, v7, v9, vcc_lo
	v_cndmask_b32_e64 v3, v10, v13, s2
	v_cndmask_b32_e32 v6, v6, v8, vcc_lo
	s_delay_alu instid0(VALU_DEP_2) | instskip(NEXT) | instid1(VALU_DEP_2)
	v_cmp_ne_u32_e32 vcc_lo, 0, v3
	v_dual_cndmask_b32 v5, v5, v7 :: v_dual_cndmask_b32 v4, v4, v6
.LBB4_11:
	s_or_saveexec_b32 s2, s3
	v_cvt_f32_u32_e32 v12, s20
	s_xor_b32 exec_lo, exec_lo, s2
	s_cbranch_execz .LBB4_13
; %bb.12:
	s_delay_alu instid0(VALU_DEP_1) | instskip(SKIP_2) | instid1(TRANS32_DEP_1)
	v_rcp_iflag_f32_e32 v3, v12
	s_sub_co_i32 s3, 0, s20
	v_nop
	v_mul_f32_e32 v3, 0x4f7ffffe, v3
	s_delay_alu instid0(VALU_DEP_1) | instskip(NEXT) | instid1(VALU_DEP_1)
	v_cvt_u32_f32_e32 v3, v3
	v_mul_lo_u32 v4, s3, v3
	s_delay_alu instid0(VALU_DEP_1) | instskip(NEXT) | instid1(VALU_DEP_1)
	v_mul_hi_u32 v4, v3, v4
	v_add_nc_u32_e32 v3, v3, v4
	s_delay_alu instid0(VALU_DEP_1) | instskip(NEXT) | instid1(VALU_DEP_1)
	v_mul_hi_u32 v3, v0, v3
	v_mul_lo_u32 v4, v3, s20
	s_delay_alu instid0(VALU_DEP_1) | instskip(NEXT) | instid1(VALU_DEP_1)
	v_dual_add_nc_u32 v5, 1, v3 :: v_dual_sub_nc_u32 v4, v0, v4
	v_subrev_nc_u32_e32 v6, s20, v4
	v_cmp_le_u32_e32 vcc_lo, s20, v4
	s_delay_alu instid0(VALU_DEP_2) | instskip(NEXT) | instid1(VALU_DEP_1)
	v_dual_cndmask_b32 v4, v4, v6 :: v_dual_cndmask_b32 v3, v3, v5
	v_cmp_le_u32_e32 vcc_lo, s20, v4
	s_delay_alu instid0(VALU_DEP_2) | instskip(NEXT) | instid1(VALU_DEP_1)
	v_add_nc_u32_e32 v5, 1, v3
	v_dual_cndmask_b32 v4, v3, v5 :: v_dual_mov_b32 v5, 0
.LBB4_13:
	s_or_b32 exec_lo, exec_lo, s2
	v_dual_mov_b32 v8, 0 :: v_dual_bitop2_b32 v9, s19, v1 bitop3:0x54
	s_cvt_f32_u32 s3, s18
	s_cvt_f32_u32 s30, s19
	s_sub_nc_u64 s[26:27], 0, s[18:19]
                                        ; implicit-def: $vgpr6_vgpr7
	s_mov_b32 s2, exec_lo
	v_cmpx_ne_u64_e32 0, v[8:9]
	s_xor_b32 s34, exec_lo, s2
	s_cbranch_execz .LBB4_15
; %bb.14:
	s_fmamk_f32 s2, s30, 0x4f800000, s3
	s_mov_b32 s41, 0
	v_dual_mov_b32 v6, v0 :: v_dual_mov_b32 v7, v8
	s_delay_alu instid0(SALU_CYCLE_1) | instskip(SKIP_2) | instid1(TRANS32_DEP_1)
	v_s_rcp_f32 s2, s2
	v_dual_mov_b32 v10, v1 :: v_dual_mov_b32 v11, v8
	v_dual_mov_b32 v17, v8 :: v_dual_mov_b32 v9, v8
	s_mul_f32 s2, s2, 0x5f7ffffc
	s_delay_alu instid0(SALU_CYCLE_3) | instskip(NEXT) | instid1(SALU_CYCLE_3)
	s_mul_f32 s35, s2, 0x2f800000
	s_trunc_f32 s35, s35
	s_delay_alu instid0(SALU_CYCLE_3) | instskip(SKIP_1) | instid1(SALU_CYCLE_2)
	s_fmamk_f32 s2, s35, 0xcf800000, s2
	s_cvt_u32_f32 s37, s35
	s_cvt_u32_f32 s36, s2
	s_delay_alu instid0(SALU_CYCLE_3) | instskip(NEXT) | instid1(SALU_CYCLE_1)
	s_mul_u64 s[38:39], s[26:27], s[36:37]
	s_mul_hi_u32 s43, s36, s39
	s_mul_i32 s42, s36, s39
	s_mul_hi_u32 s40, s36, s38
	s_mul_i32 s35, s37, s38
	s_add_nc_u64 s[42:43], s[40:41], s[42:43]
	s_mul_hi_u32 s2, s37, s38
	s_mul_hi_u32 s44, s37, s39
	s_add_co_u32 s35, s42, s35
	s_add_co_ci_u32 s40, s43, s2
	s_mul_i32 s38, s37, s39
	s_add_co_ci_u32 s39, s44, 0
	s_delay_alu instid0(SALU_CYCLE_1) | instskip(NEXT) | instid1(SALU_CYCLE_1)
	s_add_nc_u64 s[38:39], s[40:41], s[38:39]
	s_add_co_u32 s36, s36, s38
	s_cselect_b32 s2, -1, 0
	s_delay_alu instid0(SALU_CYCLE_1) | instskip(SKIP_1) | instid1(SALU_CYCLE_1)
	s_cmp_lg_u32 s2, 0
	s_add_co_ci_u32 s37, s37, s39
	s_mul_u64 s[38:39], s[26:27], s[36:37]
	s_delay_alu instid0(SALU_CYCLE_1)
	s_mul_hi_u32 s43, s36, s39
	s_mul_i32 s42, s36, s39
	s_mul_hi_u32 s40, s36, s38
	s_mul_i32 s35, s37, s38
	s_add_nc_u64 s[42:43], s[40:41], s[42:43]
	s_mul_hi_u32 s2, s37, s38
	s_mul_hi_u32 s44, s37, s39
	s_add_co_u32 s35, s42, s35
	s_add_co_ci_u32 s40, s43, s2
	s_mul_i32 s38, s37, s39
	s_add_co_ci_u32 s39, s44, 0
	s_delay_alu instid0(SALU_CYCLE_1) | instskip(NEXT) | instid1(SALU_CYCLE_1)
	s_add_nc_u64 s[38:39], s[40:41], s[38:39]
	s_add_co_u32 s2, s36, s38
	s_cselect_b32 s35, -1, 0
	v_mul_hi_u32 v16, v0, s2
	s_cmp_lg_u32 s35, 0
	s_add_co_ci_u32 s40, s37, s39
	s_mov_b64 s[36:37], 0xffffffff
	v_mul_u64_e32 v[6:7], s[40:41], v[6:7]
	s_and_b64 s[36:37], s[2:3], s[36:37]
	s_delay_alu instid0(SALU_CYCLE_1) | instskip(SKIP_1) | instid1(VALU_DEP_3)
	v_mul_u64_e32 v[14:15], s[36:37], v[10:11]
	v_mul_u64_e32 v[10:11], s[40:41], v[10:11]
	v_add_nc_u64_e32 v[6:7], v[16:17], v[6:7]
	s_delay_alu instid0(VALU_DEP_1) | instskip(NEXT) | instid1(VALU_DEP_2)
	v_add_co_u32 v3, vcc_lo, v6, v14
	v_add_co_ci_u32_e32 v8, vcc_lo, v7, v15, vcc_lo
	s_delay_alu instid0(VALU_DEP_4) | instskip(NEXT) | instid1(VALU_DEP_1)
	v_add_co_ci_u32_e32 v11, vcc_lo, 0, v11, vcc_lo
	v_add_nc_u64_e32 v[6:7], v[8:9], v[10:11]
	s_delay_alu instid0(VALU_DEP_1) | instskip(SKIP_1) | instid1(VALU_DEP_2)
	v_mul_u64_e32 v[8:9], s[18:19], v[6:7]
	v_add_nc_u64_e32 v[10:11], 2, v[6:7]
	v_sub_nc_u32_e32 v3, v1, v9
	s_delay_alu instid0(VALU_DEP_3) | instskip(NEXT) | instid1(VALU_DEP_1)
	v_sub_co_u32 v8, vcc_lo, v0, v8
	v_sub_co_ci_u32_e64 v15, null, v1, v9, vcc_lo
	s_delay_alu instid0(VALU_DEP_3) | instskip(NEXT) | instid1(VALU_DEP_3)
	v_subrev_co_ci_u32_e64 v3, null, s19, v3, vcc_lo
	v_sub_co_u32 v13, s2, v8, s18
	v_cmp_le_u32_e32 vcc_lo, s18, v8
	s_delay_alu instid0(VALU_DEP_3) | instskip(NEXT) | instid1(VALU_DEP_3)
	v_subrev_co_ci_u32_e64 v3, null, 0, v3, s2
	v_cmp_le_u32_e64 s2, s18, v13
	v_add_nc_u64_e32 v[8:9], 1, v[6:7]
	v_cndmask_b32_e64 v16, 0, -1, vcc_lo
	s_delay_alu instid0(VALU_DEP_4) | instskip(NEXT) | instid1(VALU_DEP_4)
	v_cmp_eq_u32_e32 vcc_lo, s19, v3
	v_cndmask_b32_e64 v13, 0, -1, s2
	v_cmp_le_u32_e64 s2, s19, v3
	s_delay_alu instid0(VALU_DEP_1) | instskip(SKIP_1) | instid1(VALU_DEP_2)
	v_cndmask_b32_e64 v14, 0, -1, s2
	v_cmp_eq_u32_e64 s2, s19, v15
	v_cndmask_b32_e32 v3, v14, v13, vcc_lo
	v_cmp_le_u32_e32 vcc_lo, s19, v15
	v_cndmask_b32_e64 v13, 0, -1, vcc_lo
	s_delay_alu instid0(VALU_DEP_3) | instskip(SKIP_1) | instid1(VALU_DEP_3)
	v_cmp_ne_u32_e32 vcc_lo, 0, v3
	v_cndmask_b32_e32 v9, v9, v11, vcc_lo
	v_dual_cndmask_b32 v3, v13, v16, s2 :: v_dual_cndmask_b32 v8, v8, v10, vcc_lo
	s_delay_alu instid0(VALU_DEP_1) | instskip(NEXT) | instid1(VALU_DEP_2)
	v_cmp_ne_u32_e32 vcc_lo, 0, v3
	v_dual_cndmask_b32 v7, v7, v9 :: v_dual_cndmask_b32 v6, v6, v8
.LBB4_15:
	s_or_saveexec_b32 s2, s34
	v_cvt_f32_u32_e32 v3, s18
	s_xor_b32 exec_lo, exec_lo, s2
	s_cbranch_execz .LBB4_17
; %bb.16:
	s_delay_alu instid0(VALU_DEP_1) | instskip(SKIP_2) | instid1(TRANS32_DEP_1)
	v_rcp_iflag_f32_e32 v6, v3
	s_sub_co_i32 s34, 0, s18
	v_nop
	v_mul_f32_e32 v6, 0x4f7ffffe, v6
	s_delay_alu instid0(VALU_DEP_1) | instskip(NEXT) | instid1(VALU_DEP_1)
	v_cvt_u32_f32_e32 v6, v6
	v_mul_lo_u32 v7, s34, v6
	s_delay_alu instid0(VALU_DEP_1) | instskip(NEXT) | instid1(VALU_DEP_1)
	v_mul_hi_u32 v7, v6, v7
	v_add_nc_u32_e32 v6, v6, v7
	s_delay_alu instid0(VALU_DEP_1) | instskip(NEXT) | instid1(VALU_DEP_1)
	v_mul_hi_u32 v6, v0, v6
	v_mul_lo_u32 v7, v6, s18
	s_delay_alu instid0(VALU_DEP_1) | instskip(NEXT) | instid1(VALU_DEP_1)
	v_dual_add_nc_u32 v8, 1, v6 :: v_dual_sub_nc_u32 v7, v0, v7
	v_subrev_nc_u32_e32 v9, s18, v7
	v_cmp_le_u32_e32 vcc_lo, s18, v7
	s_delay_alu instid0(VALU_DEP_2) | instskip(NEXT) | instid1(VALU_DEP_1)
	v_dual_cndmask_b32 v7, v7, v9 :: v_dual_cndmask_b32 v6, v6, v8
	v_cmp_le_u32_e32 vcc_lo, s18, v7
	s_delay_alu instid0(VALU_DEP_2) | instskip(NEXT) | instid1(VALU_DEP_1)
	v_dual_mov_b32 v7, 0 :: v_dual_add_nc_u32 v8, 1, v6
	v_cndmask_b32_e32 v6, v6, v8, vcc_lo
.LBB4_17:
	s_or_b32 exec_lo, exec_lo, s2
	s_delay_alu instid0(VALU_DEP_2) | instskip(SKIP_1) | instid1(VALU_DEP_1)
	v_dual_mov_b32 v10, 0 :: v_dual_bitop2_b32 v11, s21, v7 bitop3:0x54
                                        ; implicit-def: $vgpr8_vgpr9
	s_mov_b32 s2, exec_lo
	v_cmpx_ne_u64_e32 0, v[10:11]
	s_xor_b32 s34, exec_lo, s2
	s_cbranch_execz .LBB4_19
; %bb.18:
	s_fmamk_f32 s2, s33, 0x4f800000, s31
	s_mov_b32 s41, 0
	v_dual_mov_b32 v8, v6 :: v_dual_mov_b32 v9, v10
	s_delay_alu instid0(SALU_CYCLE_1) | instskip(SKIP_2) | instid1(TRANS32_DEP_1)
	v_s_rcp_f32 s2, s2
	v_dual_mov_b32 v12, v7 :: v_dual_mov_b32 v13, v10
	v_dual_mov_b32 v17, v10 :: v_dual_mov_b32 v11, v10
	s_mul_f32 s2, s2, 0x5f7ffffc
	s_delay_alu instid0(SALU_CYCLE_3) | instskip(NEXT) | instid1(SALU_CYCLE_3)
	s_mul_f32 s31, s2, 0x2f800000
	s_trunc_f32 s31, s31
	s_delay_alu instid0(SALU_CYCLE_3) | instskip(SKIP_1) | instid1(SALU_CYCLE_2)
	s_fmamk_f32 s2, s31, 0xcf800000, s2
	s_cvt_u32_f32 s37, s31
	s_cvt_u32_f32 s36, s2
	s_delay_alu instid0(SALU_CYCLE_3) | instskip(NEXT) | instid1(SALU_CYCLE_1)
	s_mul_u64 s[38:39], s[28:29], s[36:37]
	s_mul_hi_u32 s43, s36, s39
	s_mul_i32 s42, s36, s39
	s_mul_hi_u32 s40, s36, s38
	s_mul_i32 s31, s37, s38
	s_add_nc_u64 s[42:43], s[40:41], s[42:43]
	s_mul_hi_u32 s2, s37, s38
	s_mul_hi_u32 s33, s37, s39
	s_add_co_u32 s31, s42, s31
	s_add_co_ci_u32 s40, s43, s2
	s_mul_i32 s38, s37, s39
	s_add_co_ci_u32 s39, s33, 0
	s_delay_alu instid0(SALU_CYCLE_1) | instskip(NEXT) | instid1(SALU_CYCLE_1)
	s_add_nc_u64 s[38:39], s[40:41], s[38:39]
	s_add_co_u32 s36, s36, s38
	s_cselect_b32 s2, -1, 0
	s_delay_alu instid0(SALU_CYCLE_1) | instskip(SKIP_1) | instid1(SALU_CYCLE_1)
	s_cmp_lg_u32 s2, 0
	s_add_co_ci_u32 s37, s37, s39
	s_mul_u64 s[28:29], s[28:29], s[36:37]
	s_delay_alu instid0(SALU_CYCLE_1)
	s_mul_hi_u32 s39, s36, s29
	s_mul_i32 s38, s36, s29
	s_mul_hi_u32 s40, s36, s28
	s_mul_i32 s31, s37, s28
	s_add_nc_u64 s[38:39], s[40:41], s[38:39]
	s_mul_hi_u32 s2, s37, s28
	s_mul_hi_u32 s33, s37, s29
	s_mul_i32 s28, s37, s29
	s_add_co_u32 s29, s38, s31
	s_add_co_ci_u32 s40, s39, s2
	s_add_co_ci_u32 s29, s33, 0
	s_delay_alu instid0(SALU_CYCLE_1) | instskip(NEXT) | instid1(SALU_CYCLE_1)
	s_add_nc_u64 s[28:29], s[40:41], s[28:29]
	s_add_co_u32 s2, s36, s28
	s_cselect_b32 s28, -1, 0
	v_mul_hi_u32 v16, v6, s2
	s_cmp_lg_u32 s28, 0
	s_add_co_ci_u32 s40, s37, s29
	s_mov_b64 s[28:29], 0xffffffff
	v_mul_u64_e32 v[8:9], s[40:41], v[8:9]
	s_and_b64 s[28:29], s[2:3], s[28:29]
	s_delay_alu instid0(SALU_CYCLE_1) | instskip(SKIP_1) | instid1(VALU_DEP_3)
	v_mul_u64_e32 v[14:15], s[28:29], v[12:13]
	v_mul_u64_e32 v[12:13], s[40:41], v[12:13]
	v_add_nc_u64_e32 v[8:9], v[16:17], v[8:9]
	s_delay_alu instid0(VALU_DEP_1) | instskip(NEXT) | instid1(VALU_DEP_2)
	v_add_co_u32 v8, vcc_lo, v8, v14
	v_add_co_ci_u32_e32 v10, vcc_lo, v9, v15, vcc_lo
	s_delay_alu instid0(VALU_DEP_4) | instskip(NEXT) | instid1(VALU_DEP_1)
	v_add_co_ci_u32_e32 v13, vcc_lo, 0, v13, vcc_lo
	v_add_nc_u64_e32 v[8:9], v[10:11], v[12:13]
	s_delay_alu instid0(VALU_DEP_1) | instskip(NEXT) | instid1(VALU_DEP_1)
	v_mul_u64_e32 v[10:11], s[20:21], v[8:9]
	v_sub_nc_u32_e32 v12, v7, v11
	s_delay_alu instid0(VALU_DEP_2) | instskip(NEXT) | instid1(VALU_DEP_1)
	v_sub_co_u32 v6, vcc_lo, v6, v10
	v_sub_co_ci_u32_e64 v11, null, v7, v11, vcc_lo
	s_delay_alu instid0(VALU_DEP_3) | instskip(NEXT) | instid1(VALU_DEP_3)
	v_subrev_co_ci_u32_e64 v10, null, s21, v12, vcc_lo
	v_sub_co_u32 v14, s2, v6, s20
	v_cmp_le_u32_e32 vcc_lo, s20, v6
	s_delay_alu instid0(VALU_DEP_3) | instskip(NEXT) | instid1(VALU_DEP_3)
	v_subrev_co_ci_u32_e64 v10, null, 0, v10, s2
	v_cmp_le_u32_e64 s2, s20, v14
	v_add_nc_u64_e32 v[12:13], 2, v[8:9]
	v_cndmask_b32_e64 v16, 0, -1, vcc_lo
	s_delay_alu instid0(VALU_DEP_4) | instskip(SKIP_3) | instid1(VALU_DEP_1)
	v_cmp_eq_u32_e32 vcc_lo, s21, v10
	v_add_nc_u64_e32 v[6:7], 1, v[8:9]
	v_cndmask_b32_e64 v14, 0, -1, s2
	v_cmp_le_u32_e64 s2, s21, v10
	v_cndmask_b32_e64 v15, 0, -1, s2
	v_cmp_eq_u32_e64 s2, s21, v11
	s_delay_alu instid0(VALU_DEP_2) | instskip(SKIP_2) | instid1(VALU_DEP_3)
	v_cndmask_b32_e32 v10, v15, v14, vcc_lo
	v_cmp_le_u32_e32 vcc_lo, s21, v11
	v_cndmask_b32_e64 v14, 0, -1, vcc_lo
	v_cmp_ne_u32_e32 vcc_lo, 0, v10
	s_delay_alu instid0(VALU_DEP_2) | instskip(SKIP_1) | instid1(VALU_DEP_2)
	v_cndmask_b32_e64 v10, v14, v16, s2
	v_dual_cndmask_b32 v6, v6, v12 :: v_dual_cndmask_b32 v7, v7, v13
                                        ; implicit-def: $vgpr12
	v_cmp_ne_u32_e32 vcc_lo, 0, v10
	s_delay_alu instid0(VALU_DEP_2)
	v_dual_cndmask_b32 v8, v8, v6 :: v_dual_cndmask_b32 v9, v9, v7
                                        ; implicit-def: $vgpr6_vgpr7
.LBB4_19:
	s_and_not1_saveexec_b32 s2, s34
	s_cbranch_execz .LBB4_21
; %bb.20:
	v_rcp_iflag_f32_e32 v7, v12
	s_sub_co_i32 s21, 0, s20
	v_nop
	s_delay_alu instid0(TRANS32_DEP_1) | instskip(NEXT) | instid1(VALU_DEP_1)
	v_mul_f32_e32 v7, 0x4f7ffffe, v7
	v_cvt_u32_f32_e32 v7, v7
	s_delay_alu instid0(VALU_DEP_1) | instskip(NEXT) | instid1(VALU_DEP_1)
	v_mul_lo_u32 v8, s21, v7
	v_mul_hi_u32 v8, v7, v8
	s_delay_alu instid0(VALU_DEP_1) | instskip(NEXT) | instid1(VALU_DEP_1)
	v_add_nc_u32_e32 v7, v7, v8
	v_mul_hi_u32 v7, v6, v7
	s_delay_alu instid0(VALU_DEP_1) | instskip(NEXT) | instid1(VALU_DEP_1)
	v_mul_lo_u32 v8, v7, s20
	v_dual_sub_nc_u32 v6, v6, v8 :: v_dual_add_nc_u32 v8, 1, v7
	s_delay_alu instid0(VALU_DEP_1) | instskip(SKIP_1) | instid1(VALU_DEP_2)
	v_subrev_nc_u32_e32 v9, s20, v6
	v_cmp_le_u32_e32 vcc_lo, s20, v6
	v_dual_cndmask_b32 v6, v6, v9 :: v_dual_mov_b32 v9, 0
	s_delay_alu instid0(VALU_DEP_4) | instskip(NEXT) | instid1(VALU_DEP_2)
	v_cndmask_b32_e32 v7, v7, v8, vcc_lo
	v_cmp_le_u32_e32 vcc_lo, s20, v6
	s_delay_alu instid0(VALU_DEP_2) | instskip(NEXT) | instid1(VALU_DEP_1)
	v_add_nc_u32_e32 v8, 1, v7
	v_cndmask_b32_e32 v8, v7, v8, vcc_lo
.LBB4_21:
	s_or_b32 exec_lo, exec_lo, s2
	s_delay_alu instid0(VALU_DEP_1) | instskip(SKIP_1) | instid1(VALU_DEP_1)
	v_dual_mov_b32 v10, 0 :: v_dual_bitop2_b32 v11, s17, v9 bitop3:0x54
                                        ; implicit-def: $vgpr6_vgpr7
	s_mov_b32 s2, exec_lo
	v_cmpx_ne_u64_e32 0, v[10:11]
	s_xor_b32 s21, exec_lo, s2
	s_cbranch_execz .LBB4_23
; %bb.22:
	s_cvt_f32_u32 s2, s16
	s_cvt_f32_u32 s28, s17
	s_sub_nc_u64 s[34:35], 0, s[16:17]
	s_mov_b32 s39, 0
	v_dual_mov_b32 v6, v8 :: v_dual_mov_b32 v7, v10
	s_fmamk_f32 s2, s28, 0x4f800000, s2
	v_dual_mov_b32 v12, v9 :: v_dual_mov_b32 v13, v10
	v_dual_mov_b32 v17, v10 :: v_dual_mov_b32 v11, v10
	s_delay_alu instid0(SALU_CYCLE_1) | instskip(NEXT) | instid1(TRANS32_DEP_1)
	v_s_rcp_f32 s2, s2
	s_mul_f32 s2, s2, 0x5f7ffffc
	s_delay_alu instid0(SALU_CYCLE_3) | instskip(NEXT) | instid1(SALU_CYCLE_3)
	s_mul_f32 s28, s2, 0x2f800000
	s_trunc_f32 s28, s28
	s_delay_alu instid0(SALU_CYCLE_3) | instskip(SKIP_1) | instid1(SALU_CYCLE_2)
	s_fmamk_f32 s2, s28, 0xcf800000, s2
	s_cvt_u32_f32 s29, s28
	s_cvt_u32_f32 s28, s2
	s_delay_alu instid0(SALU_CYCLE_3) | instskip(NEXT) | instid1(SALU_CYCLE_1)
	s_mul_u64 s[36:37], s[34:35], s[28:29]
	s_mul_hi_u32 s41, s28, s37
	s_mul_i32 s40, s28, s37
	s_mul_hi_u32 s38, s28, s36
	s_mul_i32 s31, s29, s36
	s_add_nc_u64 s[40:41], s[38:39], s[40:41]
	s_mul_hi_u32 s2, s29, s36
	s_mul_hi_u32 s33, s29, s37
	s_add_co_u32 s31, s40, s31
	s_add_co_ci_u32 s38, s41, s2
	s_mul_i32 s36, s29, s37
	s_add_co_ci_u32 s37, s33, 0
	s_delay_alu instid0(SALU_CYCLE_1) | instskip(NEXT) | instid1(SALU_CYCLE_1)
	s_add_nc_u64 s[36:37], s[38:39], s[36:37]
	s_add_co_u32 s28, s28, s36
	s_cselect_b32 s2, -1, 0
	s_delay_alu instid0(SALU_CYCLE_1) | instskip(SKIP_1) | instid1(SALU_CYCLE_1)
	s_cmp_lg_u32 s2, 0
	s_add_co_ci_u32 s29, s29, s37
	s_mul_u64 s[34:35], s[34:35], s[28:29]
	s_delay_alu instid0(SALU_CYCLE_1)
	s_mul_hi_u32 s37, s28, s35
	s_mul_i32 s36, s28, s35
	s_mul_hi_u32 s38, s28, s34
	s_mul_i32 s31, s29, s34
	s_add_nc_u64 s[36:37], s[38:39], s[36:37]
	s_mul_hi_u32 s2, s29, s34
	s_mul_hi_u32 s33, s29, s35
	s_add_co_u32 s31, s36, s31
	s_add_co_ci_u32 s38, s37, s2
	s_mul_i32 s34, s29, s35
	s_add_co_ci_u32 s35, s33, 0
	s_delay_alu instid0(SALU_CYCLE_1) | instskip(NEXT) | instid1(SALU_CYCLE_1)
	s_add_nc_u64 s[34:35], s[38:39], s[34:35]
	s_add_co_u32 s2, s28, s34
	s_cselect_b32 s28, -1, 0
	v_nop
	v_mul_hi_u32 v16, v8, s2
	s_cmp_lg_u32 s28, 0
	s_add_co_ci_u32 s38, s29, s35
	s_mov_b64 s[28:29], 0xffffffff
	v_mul_u64_e32 v[6:7], s[38:39], v[6:7]
	s_and_b64 s[28:29], s[2:3], s[28:29]
	s_delay_alu instid0(SALU_CYCLE_1) | instskip(SKIP_1) | instid1(VALU_DEP_3)
	v_mul_u64_e32 v[14:15], s[28:29], v[12:13]
	v_mul_u64_e32 v[12:13], s[38:39], v[12:13]
	v_add_nc_u64_e32 v[6:7], v[16:17], v[6:7]
	s_delay_alu instid0(VALU_DEP_1) | instskip(NEXT) | instid1(VALU_DEP_2)
	v_add_co_u32 v6, vcc_lo, v6, v14
	v_add_co_ci_u32_e32 v10, vcc_lo, v7, v15, vcc_lo
	s_delay_alu instid0(VALU_DEP_4) | instskip(NEXT) | instid1(VALU_DEP_1)
	v_add_co_ci_u32_e32 v13, vcc_lo, 0, v13, vcc_lo
	v_add_nc_u64_e32 v[6:7], v[10:11], v[12:13]
	s_delay_alu instid0(VALU_DEP_1) | instskip(NEXT) | instid1(VALU_DEP_1)
	v_mul_u64_e32 v[6:7], s[16:17], v[6:7]
	v_sub_nc_u32_e32 v10, v9, v7
	s_delay_alu instid0(VALU_DEP_2) | instskip(NEXT) | instid1(VALU_DEP_1)
	v_sub_co_u32 v6, vcc_lo, v8, v6
	v_sub_co_ci_u32_e64 v7, null, v9, v7, vcc_lo
	s_delay_alu instid0(VALU_DEP_3) | instskip(NEXT) | instid1(VALU_DEP_3)
	v_subrev_co_ci_u32_e64 v8, null, s17, v10, vcc_lo
	v_sub_co_u32 v9, vcc_lo, v6, s16
	v_cmp_le_u32_e64 s2, s16, v6
	s_delay_alu instid0(VALU_DEP_3) | instskip(SKIP_1) | instid1(VALU_DEP_3)
	v_subrev_co_ci_u32_e64 v10, null, 0, v8, vcc_lo
	v_subrev_co_ci_u32_e64 v8, null, s17, v8, vcc_lo
	v_cndmask_b32_e64 v11, 0, -1, s2
	v_cmp_le_u32_e64 s2, s16, v9
	v_cmp_le_u32_e32 vcc_lo, s17, v7
	s_delay_alu instid0(VALU_DEP_2) | instskip(SKIP_3) | instid1(VALU_DEP_3)
	v_cndmask_b32_e64 v12, 0, -1, s2
	v_cmp_le_u32_e64 s2, s17, v10
	v_cndmask_b32_e64 v14, 0, -1, vcc_lo
	v_cmp_eq_u32_e32 vcc_lo, s17, v10
	v_cndmask_b32_e64 v13, 0, -1, s2
	s_delay_alu instid0(VALU_DEP_1) | instskip(SKIP_1) | instid1(VALU_DEP_1)
	v_cndmask_b32_e32 v10, v13, v12, vcc_lo
	v_sub_co_u32 v12, vcc_lo, v9, s16
	v_subrev_co_ci_u32_e64 v8, null, 0, v8, vcc_lo
	v_cmp_eq_u32_e32 vcc_lo, s17, v7
	v_cndmask_b32_e32 v7, v14, v11, vcc_lo
	v_cmp_ne_u32_e32 vcc_lo, 0, v10
	v_cndmask_b32_e32 v8, v9, v12, vcc_lo
	s_delay_alu instid0(VALU_DEP_3) | instskip(NEXT) | instid1(VALU_DEP_2)
	v_cmp_ne_u32_e32 vcc_lo, 0, v7
	v_cndmask_b32_e32 v6, v6, v8, vcc_lo
                                        ; implicit-def: $vgpr8_vgpr9
.LBB4_23:
	s_and_not1_saveexec_b32 s2, s21
	s_cbranch_execz .LBB4_25
; %bb.24:
	v_cvt_f32_u32_e32 v6, s16
	s_sub_co_i32 s17, 0, s16
	s_delay_alu instid0(VALU_DEP_1) | instskip(SKIP_1) | instid1(TRANS32_DEP_1)
	v_rcp_iflag_f32_e32 v6, v6
	v_nop
	v_mul_f32_e32 v6, 0x4f7ffffe, v6
	s_delay_alu instid0(VALU_DEP_1) | instskip(NEXT) | instid1(VALU_DEP_1)
	v_cvt_u32_f32_e32 v6, v6
	v_mul_lo_u32 v7, s17, v6
	s_delay_alu instid0(VALU_DEP_1) | instskip(NEXT) | instid1(VALU_DEP_1)
	v_mul_hi_u32 v7, v6, v7
	v_add_nc_u32_e32 v6, v6, v7
	s_delay_alu instid0(VALU_DEP_1) | instskip(NEXT) | instid1(VALU_DEP_1)
	v_mul_hi_u32 v6, v8, v6
	v_mul_lo_u32 v6, v6, s16
	s_delay_alu instid0(VALU_DEP_1) | instskip(NEXT) | instid1(VALU_DEP_1)
	v_sub_nc_u32_e32 v6, v8, v6
	v_subrev_nc_u32_e32 v7, s16, v6
	v_cmp_le_u32_e32 vcc_lo, s16, v6
	s_delay_alu instid0(VALU_DEP_2) | instskip(NEXT) | instid1(VALU_DEP_1)
	v_cndmask_b32_e32 v6, v6, v7, vcc_lo
	v_subrev_nc_u32_e32 v7, s16, v6
	v_cmp_le_u32_e32 vcc_lo, s16, v6
	s_delay_alu instid0(VALU_DEP_2)
	v_cndmask_b32_e32 v6, v6, v7, vcc_lo
.LBB4_25:
	s_or_b32 exec_lo, exec_lo, s2
	v_dual_mov_b32 v8, 0 :: v_dual_bitop2_b32 v9, s19, v5 bitop3:0x54
                                        ; implicit-def: $vgpr10_vgpr11
	s_mov_b32 s2, exec_lo
	s_delay_alu instid0(VALU_DEP_1)
	v_cmpx_ne_u64_e32 0, v[8:9]
	s_xor_b32 s16, exec_lo, s2
	s_cbranch_execz .LBB4_27
; %bb.26:
	s_fmamk_f32 s2, s30, 0x4f800000, s3
	s_mov_b32 s31, 0
	v_dual_mov_b32 v10, v4 :: v_dual_mov_b32 v11, v8
	s_delay_alu instid0(SALU_CYCLE_1) | instskip(SKIP_2) | instid1(TRANS32_DEP_1)
	v_s_rcp_f32 s2, s2
	v_dual_mov_b32 v12, v5 :: v_dual_mov_b32 v13, v8
	v_dual_mov_b32 v17, v8 :: v_dual_mov_b32 v9, v8
	s_mul_f32 s2, s2, 0x5f7ffffc
	s_delay_alu instid0(SALU_CYCLE_3) | instskip(NEXT) | instid1(SALU_CYCLE_3)
	s_mul_f32 s3, s2, 0x2f800000
	s_trunc_f32 s3, s3
	s_delay_alu instid0(SALU_CYCLE_3) | instskip(SKIP_1) | instid1(SALU_CYCLE_2)
	s_fmamk_f32 s2, s3, 0xcf800000, s2
	s_cvt_u32_f32 s3, s3
	s_cvt_u32_f32 s2, s2
	s_delay_alu instid0(SALU_CYCLE_3) | instskip(NEXT) | instid1(SALU_CYCLE_1)
	s_mul_u64 s[28:29], s[26:27], s[2:3]
	s_mul_hi_u32 s35, s2, s29
	s_mul_i32 s34, s2, s29
	s_mul_hi_u32 s30, s2, s28
	s_mul_i32 s21, s3, s28
	s_add_nc_u64 s[34:35], s[30:31], s[34:35]
	s_mul_hi_u32 s17, s3, s28
	s_mul_hi_u32 s33, s3, s29
	s_add_co_u32 s21, s34, s21
	s_add_co_ci_u32 s30, s35, s17
	s_mul_i32 s28, s3, s29
	s_add_co_ci_u32 s29, s33, 0
	s_delay_alu instid0(SALU_CYCLE_1) | instskip(NEXT) | instid1(SALU_CYCLE_1)
	s_add_nc_u64 s[28:29], s[30:31], s[28:29]
	s_add_co_u32 s2, s2, s28
	s_cselect_b32 s17, -1, 0
	s_delay_alu instid0(SALU_CYCLE_1) | instskip(SKIP_1) | instid1(SALU_CYCLE_1)
	s_cmp_lg_u32 s17, 0
	s_add_co_ci_u32 s3, s3, s29
	s_mul_u64 s[26:27], s[26:27], s[2:3]
	s_delay_alu instid0(SALU_CYCLE_1)
	s_mul_hi_u32 s29, s2, s27
	s_mul_i32 s28, s2, s27
	s_mul_hi_u32 s30, s2, s26
	s_mul_i32 s21, s3, s26
	s_add_nc_u64 s[28:29], s[30:31], s[28:29]
	s_mul_hi_u32 s17, s3, s26
	s_mul_hi_u32 s33, s3, s27
	s_add_co_u32 s21, s28, s21
	s_add_co_ci_u32 s30, s29, s17
	s_mul_i32 s26, s3, s27
	s_add_co_ci_u32 s27, s33, 0
	s_delay_alu instid0(SALU_CYCLE_1) | instskip(NEXT) | instid1(SALU_CYCLE_1)
	s_add_nc_u64 s[26:27], s[30:31], s[26:27]
	s_add_co_u32 s2, s2, s26
	s_cselect_b32 s17, -1, 0
	v_mul_hi_u32 v16, v4, s2
	s_cmp_lg_u32 s17, 0
	s_add_co_ci_u32 s30, s3, s27
	s_mov_b64 s[26:27], 0xffffffff
	v_mul_u64_e32 v[10:11], s[30:31], v[10:11]
	s_and_b64 s[26:27], s[2:3], s[26:27]
	s_delay_alu instid0(SALU_CYCLE_1) | instskip(SKIP_1) | instid1(VALU_DEP_3)
	v_mul_u64_e32 v[14:15], s[26:27], v[12:13]
	v_mul_u64_e32 v[12:13], s[30:31], v[12:13]
	v_add_nc_u64_e32 v[10:11], v[16:17], v[10:11]
	s_delay_alu instid0(VALU_DEP_1) | instskip(NEXT) | instid1(VALU_DEP_2)
	v_add_co_u32 v3, vcc_lo, v10, v14
	v_add_co_ci_u32_e32 v8, vcc_lo, v11, v15, vcc_lo
	s_delay_alu instid0(VALU_DEP_4) | instskip(NEXT) | instid1(VALU_DEP_1)
	v_add_co_ci_u32_e32 v13, vcc_lo, 0, v13, vcc_lo
	v_add_nc_u64_e32 v[8:9], v[8:9], v[12:13]
	s_delay_alu instid0(VALU_DEP_1) | instskip(NEXT) | instid1(VALU_DEP_1)
	v_mul_u64_e32 v[8:9], s[18:19], v[8:9]
	v_sub_nc_u32_e32 v3, v5, v9
	s_delay_alu instid0(VALU_DEP_2) | instskip(NEXT) | instid1(VALU_DEP_1)
	v_sub_co_u32 v7, vcc_lo, v4, v8
	v_sub_co_ci_u32_e64 v5, null, v5, v9, vcc_lo
	s_delay_alu instid0(VALU_DEP_3) | instskip(NEXT) | instid1(VALU_DEP_3)
	v_subrev_co_ci_u32_e64 v3, null, s19, v3, vcc_lo
	v_sub_co_u32 v8, vcc_lo, v7, s18
	v_cmp_le_u32_e64 s2, s18, v7
	s_delay_alu instid0(VALU_DEP_3) | instskip(SKIP_1) | instid1(VALU_DEP_3)
	v_subrev_co_ci_u32_e64 v9, null, 0, v3, vcc_lo
	v_subrev_co_ci_u32_e64 v3, null, s19, v3, vcc_lo
	v_cndmask_b32_e64 v10, 0, -1, s2
	v_cmp_le_u32_e64 s2, s18, v8
	v_cmp_le_u32_e32 vcc_lo, s19, v5
	s_delay_alu instid0(VALU_DEP_2) | instskip(SKIP_3) | instid1(VALU_DEP_3)
	v_cndmask_b32_e64 v11, 0, -1, s2
	v_cmp_le_u32_e64 s2, s19, v9
	v_cndmask_b32_e64 v13, 0, -1, vcc_lo
	v_cmp_eq_u32_e32 vcc_lo, s19, v9
	v_cndmask_b32_e64 v12, 0, -1, s2
	s_delay_alu instid0(VALU_DEP_1) | instskip(SKIP_1) | instid1(VALU_DEP_1)
	v_cndmask_b32_e32 v9, v12, v11, vcc_lo
	v_sub_co_u32 v11, vcc_lo, v8, s18
	v_subrev_co_ci_u32_e64 v3, null, 0, v3, vcc_lo
	v_cmp_eq_u32_e32 vcc_lo, s19, v5
	v_cndmask_b32_e32 v3, v13, v10, vcc_lo
	v_cmp_ne_u32_e32 vcc_lo, 0, v9
	v_cndmask_b32_e32 v5, v8, v11, vcc_lo
	s_delay_alu instid0(VALU_DEP_3) | instskip(NEXT) | instid1(VALU_DEP_2)
	v_cmp_ne_u32_e32 vcc_lo, 0, v3
                                        ; implicit-def: $vgpr3
	v_cndmask_b32_e32 v10, v7, v5, vcc_lo
.LBB4_27:
	s_and_not1_saveexec_b32 s2, s16
	s_cbranch_execz .LBB4_29
; %bb.28:
	v_rcp_iflag_f32_e32 v3, v3
	s_sub_co_i32 s3, 0, s18
	v_nop
	s_delay_alu instid0(TRANS32_DEP_1) | instskip(NEXT) | instid1(VALU_DEP_1)
	v_mul_f32_e32 v3, 0x4f7ffffe, v3
	v_cvt_u32_f32_e32 v3, v3
	s_delay_alu instid0(VALU_DEP_1) | instskip(NEXT) | instid1(VALU_DEP_1)
	v_mul_lo_u32 v5, s3, v3
	v_mul_hi_u32 v5, v3, v5
	s_delay_alu instid0(VALU_DEP_1) | instskip(NEXT) | instid1(VALU_DEP_1)
	v_add_nc_u32_e32 v3, v3, v5
	v_mul_hi_u32 v3, v4, v3
	s_delay_alu instid0(VALU_DEP_1) | instskip(NEXT) | instid1(VALU_DEP_1)
	v_mul_lo_u32 v3, v3, s18
	v_sub_nc_u32_e32 v3, v4, v3
	s_delay_alu instid0(VALU_DEP_1) | instskip(SKIP_1) | instid1(VALU_DEP_2)
	v_subrev_nc_u32_e32 v5, s18, v3
	v_cmp_le_u32_e32 vcc_lo, s18, v3
	v_cndmask_b32_e32 v3, v3, v5, vcc_lo
	s_delay_alu instid0(VALU_DEP_1) | instskip(SKIP_1) | instid1(VALU_DEP_2)
	v_subrev_nc_u32_e32 v5, s18, v3
	v_cmp_le_u32_e32 vcc_lo, s18, v3
	v_cndmask_b32_e32 v10, v3, v5, vcc_lo
.LBB4_29:
	s_or_b32 exec_lo, exec_lo, s2
	s_load_b96 s[0:2], s[0:1], 0x50
	v_mul_lo_u32 v3, v4, s20
	s_delay_alu instid0(VALU_DEP_2) | instskip(SKIP_1) | instid1(VALU_DEP_3)
	v_cvt_f32_i32_e32 v4, v10
	v_cvt_f32_i32_e32 v5, v6
	v_sub_nc_u32_e32 v3, v0, v3
	v_add_nc_u64_e32 v[0:1], s[22:23], v[0:1]
	s_wait_kmcnt 0x0
	v_mul_f32_e32 v6, s1, v4
	s_delay_alu instid0(VALU_DEP_3) | instskip(SKIP_2) | instid1(SALU_CYCLE_1)
	v_cvt_f32_i32_e32 v3, v3
	v_mul_f32_e32 v5, s0, v5
	s_mul_u64 s[0:1], s[14:15], s[12:13]
	s_mul_u64 s[0:1], s[0:1], s[10:11]
	s_delay_alu instid0(VALU_DEP_2) | instskip(SKIP_1) | instid1(VALU_DEP_1)
	v_mul_f32_e32 v3, s2, v3
	s_mov_b64 s[2:3], 0
	v_floor_f32_e32 v3, v3
	s_delay_alu instid0(VALU_DEP_1) | instskip(NEXT) | instid1(VALU_DEP_1)
	v_cvt_i32_f32_e32 v3, v3
	v_add_min_i32_e64 v4, s14, -1, v3
	v_floor_f32_e32 v3, v6
	v_floor_f32_e32 v6, v5
	s_delay_alu instid0(VALU_DEP_2) | instskip(NEXT) | instid1(VALU_DEP_2)
	v_cvt_i32_f32_e32 v3, v3
	v_cvt_i32_f32_e32 v7, v6
	s_delay_alu instid0(VALU_DEP_2) | instskip(SKIP_1) | instid1(VALU_DEP_3)
	v_add_min_i32_e64 v6, s12, -1, v3
	v_ashrrev_i32_e32 v5, 31, v4
	v_add_min_i32_e64 v3, s10, -1, v7
	v_ashrrev_i32_e32 v8, 31, v2
	s_delay_alu instid0(VALU_DEP_4) | instskip(NEXT) | instid1(VALU_DEP_4)
	v_ashrrev_i32_e32 v7, 31, v6
	v_mad_nc_u64_u32 v[4:5], v2, s0, v[4:5]
	s_delay_alu instid0(VALU_DEP_2) | instskip(NEXT) | instid1(VALU_DEP_2)
	v_mad_nc_u64_u32 v[6:7], s12, v3, v[6:7]
	v_mad_u32 v5, v8, s0, v5
	s_delay_alu instid0(VALU_DEP_2) | instskip(NEXT) | instid1(VALU_DEP_2)
	v_mad_u32 v7, s13, v3, v7
	v_mad_u32 v5, v2, s1, v5
	v_ashrrev_i32_e32 v2, 31, v3
	s_mul_u64 s[0:1], s[0:1], s[8:9]
	s_delay_alu instid0(VALU_DEP_1) | instskip(NEXT) | instid1(VALU_DEP_3)
	v_mad_u32 v7, s12, v2, v7
	v_mad_nc_u64_u32 v[2:3], v6, s14, v[4:5]
	s_delay_alu instid0(VALU_DEP_1) | instskip(NEXT) | instid1(VALU_DEP_1)
	v_mad_u32 v3, v7, s14, v3
	v_mad_u32 v3, v6, s15, v3
.LBB4_30:                               ; =>This Inner Loop Header: Depth=1
	s_delay_alu instid0(VALU_DEP_1)
	v_add_nc_u64_e32 v[4:5], s[4:5], v[2:3]
	s_add_nc_u64 s[2:3], s[2:3], 1
	v_add_nc_u64_e32 v[2:3], s[0:1], v[2:3]
	v_cmp_gt_u64_e64 s8, s[6:7], s[2:3]
	global_load_u8 v4, v[4:5], off
	s_and_b32 vcc_lo, exec_lo, s8
	s_wait_loadcnt 0x0
	global_store_b8 v[0:1], v4, off
	s_wait_xcnt 0x0
	v_add_nc_u64_e32 v[0:1], s[24:25], v[0:1]
	s_cbranch_vccnz .LBB4_30
.LBB4_31:
	s_endpgm
	.section	.rodata,"a",@progbits
	.p2align	6, 0x0
	.amdhsa_kernel _ZN2at6native12_GLOBAL__N_128upsample_nearest3d_out_frameIhXadL_ZNS0_37nearest_neighbor_compute_source_indexEfiiEEEEvPKT_mmmmmmmmPS3_fff
		.amdhsa_group_segment_fixed_size 0
		.amdhsa_private_segment_fixed_size 0
		.amdhsa_kernarg_size 352
		.amdhsa_user_sgpr_count 2
		.amdhsa_user_sgpr_dispatch_ptr 0
		.amdhsa_user_sgpr_queue_ptr 0
		.amdhsa_user_sgpr_kernarg_segment_ptr 1
		.amdhsa_user_sgpr_dispatch_id 0
		.amdhsa_user_sgpr_kernarg_preload_length 0
		.amdhsa_user_sgpr_kernarg_preload_offset 0
		.amdhsa_user_sgpr_private_segment_size 0
		.amdhsa_wavefront_size32 1
		.amdhsa_uses_dynamic_stack 0
		.amdhsa_enable_private_segment 0
		.amdhsa_system_sgpr_workgroup_id_x 1
		.amdhsa_system_sgpr_workgroup_id_y 0
		.amdhsa_system_sgpr_workgroup_id_z 0
		.amdhsa_system_sgpr_workgroup_info 0
		.amdhsa_system_vgpr_workitem_id 0
		.amdhsa_next_free_vgpr 18
		.amdhsa_next_free_sgpr 45
		.amdhsa_named_barrier_count 0
		.amdhsa_reserve_vcc 1
		.amdhsa_float_round_mode_32 0
		.amdhsa_float_round_mode_16_64 0
		.amdhsa_float_denorm_mode_32 3
		.amdhsa_float_denorm_mode_16_64 3
		.amdhsa_fp16_overflow 0
		.amdhsa_memory_ordered 1
		.amdhsa_forward_progress 1
		.amdhsa_inst_pref_size 42
		.amdhsa_round_robin_scheduling 0
		.amdhsa_exception_fp_ieee_invalid_op 0
		.amdhsa_exception_fp_denorm_src 0
		.amdhsa_exception_fp_ieee_div_zero 0
		.amdhsa_exception_fp_ieee_overflow 0
		.amdhsa_exception_fp_ieee_underflow 0
		.amdhsa_exception_fp_ieee_inexact 0
		.amdhsa_exception_int_div_zero 0
	.end_amdhsa_kernel
	.section	.text._ZN2at6native12_GLOBAL__N_128upsample_nearest3d_out_frameIhXadL_ZNS0_37nearest_neighbor_compute_source_indexEfiiEEEEvPKT_mmmmmmmmPS3_fff,"axG",@progbits,_ZN2at6native12_GLOBAL__N_128upsample_nearest3d_out_frameIhXadL_ZNS0_37nearest_neighbor_compute_source_indexEfiiEEEEvPKT_mmmmmmmmPS3_fff,comdat
.Lfunc_end4:
	.size	_ZN2at6native12_GLOBAL__N_128upsample_nearest3d_out_frameIhXadL_ZNS0_37nearest_neighbor_compute_source_indexEfiiEEEEvPKT_mmmmmmmmPS3_fff, .Lfunc_end4-_ZN2at6native12_GLOBAL__N_128upsample_nearest3d_out_frameIhXadL_ZNS0_37nearest_neighbor_compute_source_indexEfiiEEEEvPKT_mmmmmmmmPS3_fff
                                        ; -- End function
	.set _ZN2at6native12_GLOBAL__N_128upsample_nearest3d_out_frameIhXadL_ZNS0_37nearest_neighbor_compute_source_indexEfiiEEEEvPKT_mmmmmmmmPS3_fff.num_vgpr, 18
	.set _ZN2at6native12_GLOBAL__N_128upsample_nearest3d_out_frameIhXadL_ZNS0_37nearest_neighbor_compute_source_indexEfiiEEEEvPKT_mmmmmmmmPS3_fff.num_agpr, 0
	.set _ZN2at6native12_GLOBAL__N_128upsample_nearest3d_out_frameIhXadL_ZNS0_37nearest_neighbor_compute_source_indexEfiiEEEEvPKT_mmmmmmmmPS3_fff.numbered_sgpr, 45
	.set _ZN2at6native12_GLOBAL__N_128upsample_nearest3d_out_frameIhXadL_ZNS0_37nearest_neighbor_compute_source_indexEfiiEEEEvPKT_mmmmmmmmPS3_fff.num_named_barrier, 0
	.set _ZN2at6native12_GLOBAL__N_128upsample_nearest3d_out_frameIhXadL_ZNS0_37nearest_neighbor_compute_source_indexEfiiEEEEvPKT_mmmmmmmmPS3_fff.private_seg_size, 0
	.set _ZN2at6native12_GLOBAL__N_128upsample_nearest3d_out_frameIhXadL_ZNS0_37nearest_neighbor_compute_source_indexEfiiEEEEvPKT_mmmmmmmmPS3_fff.uses_vcc, 1
	.set _ZN2at6native12_GLOBAL__N_128upsample_nearest3d_out_frameIhXadL_ZNS0_37nearest_neighbor_compute_source_indexEfiiEEEEvPKT_mmmmmmmmPS3_fff.uses_flat_scratch, 0
	.set _ZN2at6native12_GLOBAL__N_128upsample_nearest3d_out_frameIhXadL_ZNS0_37nearest_neighbor_compute_source_indexEfiiEEEEvPKT_mmmmmmmmPS3_fff.has_dyn_sized_stack, 0
	.set _ZN2at6native12_GLOBAL__N_128upsample_nearest3d_out_frameIhXadL_ZNS0_37nearest_neighbor_compute_source_indexEfiiEEEEvPKT_mmmmmmmmPS3_fff.has_recursion, 0
	.set _ZN2at6native12_GLOBAL__N_128upsample_nearest3d_out_frameIhXadL_ZNS0_37nearest_neighbor_compute_source_indexEfiiEEEEvPKT_mmmmmmmmPS3_fff.has_indirect_call, 0
	.section	.AMDGPU.csdata,"",@progbits
; Kernel info:
; codeLenInByte = 5364
; TotalNumSgprs: 47
; NumVgprs: 18
; ScratchSize: 0
; MemoryBound: 0
; FloatMode: 240
; IeeeMode: 1
; LDSByteSize: 0 bytes/workgroup (compile time only)
; SGPRBlocks: 0
; VGPRBlocks: 1
; NumSGPRsForWavesPerEU: 47
; NumVGPRsForWavesPerEU: 18
; NamedBarCnt: 0
; Occupancy: 16
; WaveLimiterHint : 0
; COMPUTE_PGM_RSRC2:SCRATCH_EN: 0
; COMPUTE_PGM_RSRC2:USER_SGPR: 2
; COMPUTE_PGM_RSRC2:TRAP_HANDLER: 0
; COMPUTE_PGM_RSRC2:TGID_X_EN: 1
; COMPUTE_PGM_RSRC2:TGID_Y_EN: 0
; COMPUTE_PGM_RSRC2:TGID_Z_EN: 0
; COMPUTE_PGM_RSRC2:TIDIG_COMP_CNT: 0
	.section	.text._ZN2at6native12_GLOBAL__N_128upsample_nearest3d_out_frameIdXadL_ZNS0_43nearest_neighbor_exact_compute_source_indexEfiiEEEEvPKT_mmmmmmmmPS3_fff,"axG",@progbits,_ZN2at6native12_GLOBAL__N_128upsample_nearest3d_out_frameIdXadL_ZNS0_43nearest_neighbor_exact_compute_source_indexEfiiEEEEvPKT_mmmmmmmmPS3_fff,comdat
	.globl	_ZN2at6native12_GLOBAL__N_128upsample_nearest3d_out_frameIdXadL_ZNS0_43nearest_neighbor_exact_compute_source_indexEfiiEEEEvPKT_mmmmmmmmPS3_fff ; -- Begin function _ZN2at6native12_GLOBAL__N_128upsample_nearest3d_out_frameIdXadL_ZNS0_43nearest_neighbor_exact_compute_source_indexEfiiEEEEvPKT_mmmmmmmmPS3_fff
	.p2align	8
	.type	_ZN2at6native12_GLOBAL__N_128upsample_nearest3d_out_frameIdXadL_ZNS0_43nearest_neighbor_exact_compute_source_indexEfiiEEEEvPKT_mmmmmmmmPS3_fff,@function
_ZN2at6native12_GLOBAL__N_128upsample_nearest3d_out_frameIdXadL_ZNS0_43nearest_neighbor_exact_compute_source_indexEfiiEEEEvPKT_mmmmmmmmPS3_fff: ; @_ZN2at6native12_GLOBAL__N_128upsample_nearest3d_out_frameIdXadL_ZNS0_43nearest_neighbor_exact_compute_source_indexEfiiEEEEvPKT_mmmmmmmmPS3_fff
; %bb.0:
	s_clause 0x2
	s_load_b32 s2, s[0:1], 0x6c
	s_load_b512 s[4:19], s[0:1], 0x0
	s_load_b128 s[20:23], s[0:1], 0x40
	s_bfe_u32 s3, ttmp6, 0x4000c
	v_mov_b32_e32 v2, 0
	s_add_co_i32 s3, s3, 1
	s_and_b32 s24, ttmp6, 15
	s_mul_i32 s3, ttmp9, s3
	s_getreg_b32 s25, hwreg(HW_REG_IB_STS2, 6, 4)
	v_mov_b32_e32 v1, v2
	s_add_co_i32 s24, s24, s3
	s_wait_kmcnt 0x0
	s_and_b32 s2, s2, 0xffff
	s_cmp_eq_u32 s25, 0
	s_cselect_b32 s3, ttmp9, s24
	s_cmp_lg_u64 s[6:7], 0
	v_mad_nc_u64_u32 v[0:1], s2, s3, v[0:1]
	s_mul_u64 s[2:3], s[18:19], s[16:17]
	s_delay_alu instid0(SALU_CYCLE_1) | instskip(NEXT) | instid1(SALU_CYCLE_1)
	s_mul_u64 s[24:25], s[2:3], s[8:9]
	s_mul_u64 s[24:25], s[24:25], s[20:21]
	s_delay_alu instid0(VALU_DEP_1) | instid1(SALU_CYCLE_1)
	v_cmp_gt_u64_e32 vcc_lo, s[24:25], v[0:1]
	s_cselect_b32 s24, -1, 0
	s_delay_alu instid0(SALU_CYCLE_1) | instskip(NEXT) | instid1(SALU_CYCLE_1)
	s_and_b32 s24, vcc_lo, s24
	s_and_saveexec_b32 s25, s24
	s_cbranch_execz .LBB5_31
; %bb.1:
	s_mul_u64 s[24:25], s[2:3], s[20:21]
                                        ; implicit-def: $vgpr4_vgpr5
	s_mov_b32 s2, exec_lo
	v_or_b32_e32 v3, s25, v1
	s_delay_alu instid0(VALU_DEP_1)
	v_cmpx_ne_u64_e32 0, v[2:3]
	s_xor_b32 s3, exec_lo, s2
	s_cbranch_execz .LBB5_3
; %bb.2:
	s_ashr_i32 s26, s25, 31
	s_mov_b32 s39, 0
	s_mov_b32 s27, s26
	v_dual_mov_b32 v7, 0 :: v_dual_ashrrev_i32 v2, 31, v1
	s_add_nc_u64 s[28:29], s[24:25], s[26:27]
	s_delay_alu instid0(SALU_CYCLE_1) | instskip(NEXT) | instid1(VALU_DEP_1)
	s_xor_b64 s[28:29], s[28:29], s[26:27]
	v_mov_b32_e32 v3, v2
	s_cvt_f32_u32 s2, s28
	s_cvt_f32_u32 s25, s29
	s_sub_nc_u64 s[34:35], 0, s[28:29]
	s_delay_alu instid0(VALU_DEP_1) | instskip(NEXT) | instid1(SALU_CYCLE_1)
	v_add_nc_u64_e32 v[4:5], v[0:1], v[2:3]
	s_fmamk_f32 s2, s25, 0x4f800000, s2
	v_mov_b32_e32 v9, v7
	s_delay_alu instid0(SALU_CYCLE_2) | instskip(NEXT) | instid1(VALU_DEP_2)
	v_s_rcp_f32 s2, s2
	v_xor_b32_e32 v6, v4, v2
	s_delay_alu instid0(VALU_DEP_3) | instskip(SKIP_1) | instid1(TRANS32_DEP_1)
	v_dual_mov_b32 v15, v7 :: v_dual_bitop2_b32 v8, v5, v2 bitop3:0x14
	v_xor_b32_e32 v2, s26, v2
	s_mul_f32 s2, s2, 0x5f7ffffc
	s_delay_alu instid0(SALU_CYCLE_3) | instskip(NEXT) | instid1(SALU_CYCLE_3)
	s_mul_f32 s25, s2, 0x2f800000
	s_trunc_f32 s25, s25
	s_delay_alu instid0(SALU_CYCLE_3) | instskip(SKIP_1) | instid1(SALU_CYCLE_2)
	s_fmamk_f32 s2, s25, 0xcf800000, s2
	s_cvt_u32_f32 s31, s25
	s_cvt_u32_f32 s30, s2
	s_delay_alu instid0(SALU_CYCLE_3) | instskip(NEXT) | instid1(SALU_CYCLE_1)
	s_mul_u64 s[36:37], s[34:35], s[30:31]
	s_mul_hi_u32 s41, s30, s37
	s_mul_i32 s40, s30, s37
	s_mul_hi_u32 s38, s30, s36
	s_mul_i32 s25, s31, s36
	s_add_nc_u64 s[40:41], s[38:39], s[40:41]
	s_mul_hi_u32 s2, s31, s36
	s_mul_hi_u32 s27, s31, s37
	s_add_co_u32 s25, s40, s25
	s_add_co_ci_u32 s38, s41, s2
	s_mul_i32 s36, s31, s37
	s_add_co_ci_u32 s37, s27, 0
	s_delay_alu instid0(SALU_CYCLE_1) | instskip(NEXT) | instid1(SALU_CYCLE_1)
	s_add_nc_u64 s[36:37], s[38:39], s[36:37]
	s_add_co_u32 s30, s30, s36
	s_cselect_b32 s2, -1, 0
	s_delay_alu instid0(SALU_CYCLE_1) | instskip(SKIP_1) | instid1(SALU_CYCLE_1)
	s_cmp_lg_u32 s2, 0
	s_add_co_ci_u32 s31, s31, s37
	s_mul_u64 s[34:35], s[34:35], s[30:31]
	s_delay_alu instid0(SALU_CYCLE_1)
	s_mul_hi_u32 s37, s30, s35
	s_mul_i32 s36, s30, s35
	s_mul_hi_u32 s38, s30, s34
	s_mul_i32 s25, s31, s34
	s_add_nc_u64 s[36:37], s[38:39], s[36:37]
	s_mul_hi_u32 s2, s31, s34
	s_mul_hi_u32 s27, s31, s35
	s_add_co_u32 s25, s36, s25
	s_add_co_ci_u32 s38, s37, s2
	s_mul_i32 s34, s31, s35
	s_add_co_ci_u32 s35, s27, 0
	s_delay_alu instid0(SALU_CYCLE_1) | instskip(NEXT) | instid1(SALU_CYCLE_1)
	s_add_nc_u64 s[34:35], s[38:39], s[34:35]
	s_add_co_u32 s2, s30, s34
	s_cselect_b32 s25, -1, 0
	v_mul_hi_u32 v14, v6, s2
	s_cmp_lg_u32 s25, 0
	s_add_co_ci_u32 s38, s31, s35
	s_mov_b64 s[30:31], 0xffffffff
	v_mul_u64_e32 v[10:11], s[38:39], v[6:7]
	s_and_b64 s[30:31], s[2:3], s[30:31]
	v_mul_u64_e32 v[12:13], s[38:39], v[8:9]
	v_mul_u64_e32 v[4:5], s[30:31], v[8:9]
	s_delay_alu instid0(VALU_DEP_3) | instskip(NEXT) | instid1(VALU_DEP_1)
	v_add_nc_u64_e32 v[10:11], v[14:15], v[10:11]
	v_add_co_u32 v3, vcc_lo, v10, v4
	s_delay_alu instid0(VALU_DEP_2) | instskip(SKIP_1) | instid1(VALU_DEP_1)
	v_add_co_ci_u32_e32 v14, vcc_lo, v11, v5, vcc_lo
	v_add_co_ci_u32_e32 v13, vcc_lo, 0, v13, vcc_lo
	v_add_nc_u64_e32 v[4:5], v[14:15], v[12:13]
	s_delay_alu instid0(VALU_DEP_1) | instskip(NEXT) | instid1(VALU_DEP_1)
	v_mul_u64_e32 v[10:11], s[28:29], v[4:5]
	v_sub_nc_u32_e32 v3, v8, v11
	s_delay_alu instid0(VALU_DEP_2) | instskip(NEXT) | instid1(VALU_DEP_1)
	v_sub_co_u32 v6, vcc_lo, v6, v10
	v_sub_co_ci_u32_e64 v10, null, v8, v11, vcc_lo
	s_delay_alu instid0(VALU_DEP_3) | instskip(NEXT) | instid1(VALU_DEP_3)
	v_subrev_co_ci_u32_e64 v3, null, s29, v3, vcc_lo
	v_sub_co_u32 v7, s2, v6, s28
	s_delay_alu instid0(VALU_DEP_1) | instskip(NEXT) | instid1(VALU_DEP_2)
	v_subrev_co_ci_u32_e64 v3, null, 0, v3, s2
	v_cmp_le_u32_e32 vcc_lo, s28, v7
	v_cndmask_b32_e64 v7, 0, -1, vcc_lo
	s_delay_alu instid0(VALU_DEP_3)
	v_cmp_le_u32_e32 vcc_lo, s29, v3
	v_cndmask_b32_e64 v8, 0, -1, vcc_lo
	v_cmp_le_u32_e32 vcc_lo, s28, v6
	v_cndmask_b32_e64 v11, 0, -1, vcc_lo
	v_cmp_le_u32_e32 vcc_lo, s29, v10
	v_cndmask_b32_e64 v12, 0, -1, vcc_lo
	v_cmp_eq_u32_e32 vcc_lo, s29, v3
	v_cndmask_b32_e32 v3, v8, v7, vcc_lo
	v_cmp_eq_u32_e32 vcc_lo, s29, v10
	v_add_nc_u64_e32 v[6:7], 2, v[4:5]
	v_add_nc_u64_e32 v[8:9], 1, v[4:5]
	v_cndmask_b32_e32 v10, v12, v11, vcc_lo
	v_cmp_ne_u32_e32 vcc_lo, 0, v3
	s_delay_alu instid0(VALU_DEP_2) | instskip(NEXT) | instid1(VALU_DEP_4)
	v_cmp_ne_u32_e64 s2, 0, v10
	v_dual_cndmask_b32 v6, v8, v6 :: v_dual_cndmask_b32 v3, v9, v7
	s_delay_alu instid0(VALU_DEP_1) | instskip(NEXT) | instid1(VALU_DEP_1)
	v_dual_cndmask_b32 v4, v4, v6, s2 :: v_dual_cndmask_b32 v5, v5, v3, s2
	v_dual_mov_b32 v3, v2 :: v_dual_bitop2_b32 v4, v4, v2 bitop3:0x14
	s_delay_alu instid0(VALU_DEP_2) | instskip(NEXT) | instid1(VALU_DEP_1)
	v_xor_b32_e32 v5, v5, v2
	v_sub_nc_u64_e32 v[4:5], v[4:5], v[2:3]
.LBB5_3:
	s_and_not1_saveexec_b32 s2, s3
	s_cbranch_execz .LBB5_5
; %bb.4:
	v_cvt_f32_u32_e32 v2, s24
	s_sub_co_i32 s3, 0, s24
	s_delay_alu instid0(VALU_DEP_1) | instskip(SKIP_1) | instid1(TRANS32_DEP_1)
	v_rcp_iflag_f32_e32 v2, v2
	v_nop
	v_mul_f32_e32 v2, 0x4f7ffffe, v2
	s_delay_alu instid0(VALU_DEP_1) | instskip(NEXT) | instid1(VALU_DEP_1)
	v_cvt_u32_f32_e32 v2, v2
	v_mul_lo_u32 v3, s3, v2
	s_delay_alu instid0(VALU_DEP_1) | instskip(NEXT) | instid1(VALU_DEP_1)
	v_mul_hi_u32 v3, v2, v3
	v_add_nc_u32_e32 v2, v2, v3
	s_delay_alu instid0(VALU_DEP_1) | instskip(NEXT) | instid1(VALU_DEP_1)
	v_mul_hi_u32 v2, v0, v2
	v_mul_lo_u32 v3, v2, s24
	s_delay_alu instid0(VALU_DEP_1) | instskip(NEXT) | instid1(VALU_DEP_1)
	v_dual_add_nc_u32 v4, 1, v2 :: v_dual_sub_nc_u32 v3, v0, v3
	v_subrev_nc_u32_e32 v5, s24, v3
	v_cmp_le_u32_e32 vcc_lo, s24, v3
	s_delay_alu instid0(VALU_DEP_2) | instskip(NEXT) | instid1(VALU_DEP_4)
	v_dual_cndmask_b32 v3, v3, v5, vcc_lo :: v_dual_mov_b32 v5, 0
	v_cndmask_b32_e32 v2, v2, v4, vcc_lo
	s_delay_alu instid0(VALU_DEP_2) | instskip(NEXT) | instid1(VALU_DEP_2)
	v_cmp_le_u32_e32 vcc_lo, s24, v3
	v_add_nc_u32_e32 v4, 1, v2
	s_delay_alu instid0(VALU_DEP_1)
	v_cndmask_b32_e32 v4, v2, v4, vcc_lo
.LBB5_5:
	s_or_b32 exec_lo, exec_lo, s2
	s_delay_alu instid0(VALU_DEP_1) | instskip(SKIP_1) | instid1(VALU_DEP_1)
	v_dual_mov_b32 v6, 0 :: v_dual_bitop2_b32 v7, s9, v5 bitop3:0x54
                                        ; implicit-def: $vgpr2_vgpr3
	s_mov_b32 s2, exec_lo
	v_cmpx_ne_u64_e32 0, v[6:7]
	s_xor_b32 s3, exec_lo, s2
	s_cbranch_execz .LBB5_7
; %bb.6:
	s_cvt_f32_u32 s2, s8
	s_cvt_f32_u32 s24, s9
	s_sub_nc_u64 s[26:27], 0, s[8:9]
	s_mov_b32 s31, 0
	v_dual_mov_b32 v2, v4 :: v_dual_mov_b32 v3, v6
	s_fmamk_f32 s2, s24, 0x4f800000, s2
	v_dual_mov_b32 v8, v5 :: v_dual_mov_b32 v9, v6
	v_dual_mov_b32 v13, v6 :: v_dual_mov_b32 v7, v6
	s_delay_alu instid0(SALU_CYCLE_1) | instskip(NEXT) | instid1(TRANS32_DEP_1)
	v_s_rcp_f32 s2, s2
	s_mul_f32 s2, s2, 0x5f7ffffc
	s_delay_alu instid0(SALU_CYCLE_3) | instskip(NEXT) | instid1(SALU_CYCLE_3)
	s_mul_f32 s24, s2, 0x2f800000
	s_trunc_f32 s24, s24
	s_delay_alu instid0(SALU_CYCLE_3) | instskip(SKIP_1) | instid1(SALU_CYCLE_2)
	s_fmamk_f32 s2, s24, 0xcf800000, s2
	s_cvt_u32_f32 s25, s24
	s_cvt_u32_f32 s24, s2
	s_delay_alu instid0(SALU_CYCLE_3) | instskip(NEXT) | instid1(SALU_CYCLE_1)
	s_mul_u64 s[28:29], s[26:27], s[24:25]
	s_mul_hi_u32 s35, s24, s29
	s_mul_i32 s34, s24, s29
	s_mul_hi_u32 s30, s24, s28
	s_mul_i32 s33, s25, s28
	s_add_nc_u64 s[34:35], s[30:31], s[34:35]
	s_mul_hi_u32 s2, s25, s28
	s_mul_hi_u32 s36, s25, s29
	s_mul_i32 s28, s25, s29
	s_add_co_u32 s29, s34, s33
	s_add_co_ci_u32 s30, s35, s2
	s_add_co_ci_u32 s29, s36, 0
	s_delay_alu instid0(SALU_CYCLE_1) | instskip(NEXT) | instid1(SALU_CYCLE_1)
	s_add_nc_u64 s[28:29], s[30:31], s[28:29]
	s_add_co_u32 s24, s24, s28
	s_cselect_b32 s2, -1, 0
	s_delay_alu instid0(SALU_CYCLE_1) | instskip(SKIP_1) | instid1(SALU_CYCLE_1)
	s_cmp_lg_u32 s2, 0
	s_add_co_ci_u32 s25, s25, s29
	s_mul_u64 s[26:27], s[26:27], s[24:25]
	s_delay_alu instid0(SALU_CYCLE_1)
	s_mul_hi_u32 s29, s24, s27
	s_mul_i32 s28, s24, s27
	s_mul_hi_u32 s30, s24, s26
	s_mul_i32 s33, s25, s26
	s_add_nc_u64 s[28:29], s[30:31], s[28:29]
	s_mul_hi_u32 s2, s25, s26
	s_mul_hi_u32 s34, s25, s27
	s_mul_i32 s26, s25, s27
	s_add_co_u32 s27, s28, s33
	s_add_co_ci_u32 s30, s29, s2
	s_add_co_ci_u32 s27, s34, 0
	s_delay_alu instid0(SALU_CYCLE_1) | instskip(NEXT) | instid1(SALU_CYCLE_1)
	s_add_nc_u64 s[26:27], s[30:31], s[26:27]
	s_add_co_u32 s2, s24, s26
	s_cselect_b32 s24, -1, 0
	v_nop
	v_mul_hi_u32 v12, v4, s2
	s_cmp_lg_u32 s24, 0
	s_add_co_ci_u32 s30, s25, s27
	s_mov_b64 s[24:25], 0xffffffff
	v_mul_u64_e32 v[2:3], s[30:31], v[2:3]
	s_and_b64 s[24:25], s[2:3], s[24:25]
	s_delay_alu instid0(SALU_CYCLE_1) | instskip(SKIP_1) | instid1(VALU_DEP_3)
	v_mul_u64_e32 v[10:11], s[24:25], v[8:9]
	v_mul_u64_e32 v[8:9], s[30:31], v[8:9]
	v_add_nc_u64_e32 v[2:3], v[12:13], v[2:3]
	s_delay_alu instid0(VALU_DEP_1) | instskip(NEXT) | instid1(VALU_DEP_2)
	v_add_co_u32 v2, vcc_lo, v2, v10
	v_add_co_ci_u32_e32 v6, vcc_lo, v3, v11, vcc_lo
	s_delay_alu instid0(VALU_DEP_4) | instskip(NEXT) | instid1(VALU_DEP_1)
	v_add_co_ci_u32_e32 v9, vcc_lo, 0, v9, vcc_lo
	v_add_nc_u64_e32 v[2:3], v[6:7], v[8:9]
	s_delay_alu instid0(VALU_DEP_1) | instskip(NEXT) | instid1(VALU_DEP_1)
	v_mul_u64_e32 v[2:3], s[8:9], v[2:3]
	v_sub_nc_u32_e32 v6, v5, v3
	s_delay_alu instid0(VALU_DEP_2) | instskip(NEXT) | instid1(VALU_DEP_1)
	v_sub_co_u32 v2, vcc_lo, v4, v2
	v_sub_co_ci_u32_e64 v3, null, v5, v3, vcc_lo
	s_delay_alu instid0(VALU_DEP_3) | instskip(NEXT) | instid1(VALU_DEP_3)
	v_subrev_co_ci_u32_e64 v4, null, s9, v6, vcc_lo
	v_sub_co_u32 v5, vcc_lo, v2, s8
	v_cmp_le_u32_e64 s2, s8, v2
	s_delay_alu instid0(VALU_DEP_3) | instskip(SKIP_1) | instid1(VALU_DEP_3)
	v_subrev_co_ci_u32_e64 v6, null, 0, v4, vcc_lo
	v_subrev_co_ci_u32_e64 v4, null, s9, v4, vcc_lo
	v_cndmask_b32_e64 v7, 0, -1, s2
	v_cmp_le_u32_e64 s2, s8, v5
	v_cmp_le_u32_e32 vcc_lo, s9, v3
	s_delay_alu instid0(VALU_DEP_2) | instskip(SKIP_3) | instid1(VALU_DEP_3)
	v_cndmask_b32_e64 v8, 0, -1, s2
	v_cmp_le_u32_e64 s2, s9, v6
	v_cndmask_b32_e64 v10, 0, -1, vcc_lo
	v_cmp_eq_u32_e32 vcc_lo, s9, v6
	v_cndmask_b32_e64 v9, 0, -1, s2
	s_delay_alu instid0(VALU_DEP_1) | instskip(SKIP_1) | instid1(VALU_DEP_1)
	v_cndmask_b32_e32 v6, v9, v8, vcc_lo
	v_sub_co_u32 v8, vcc_lo, v5, s8
	v_subrev_co_ci_u32_e64 v4, null, 0, v4, vcc_lo
	v_cmp_eq_u32_e32 vcc_lo, s9, v3
	v_cndmask_b32_e32 v3, v10, v7, vcc_lo
	v_cmp_ne_u32_e32 vcc_lo, 0, v6
	v_cndmask_b32_e32 v4, v5, v8, vcc_lo
	s_delay_alu instid0(VALU_DEP_3) | instskip(NEXT) | instid1(VALU_DEP_2)
	v_cmp_ne_u32_e32 vcc_lo, 0, v3
	v_cndmask_b32_e32 v2, v2, v4, vcc_lo
                                        ; implicit-def: $vgpr4_vgpr5
.LBB5_7:
	s_and_not1_saveexec_b32 s2, s3
	s_cbranch_execz .LBB5_9
; %bb.8:
	v_cvt_f32_u32_e32 v2, s8
	s_sub_co_i32 s3, 0, s8
	s_delay_alu instid0(VALU_DEP_1) | instskip(SKIP_1) | instid1(TRANS32_DEP_1)
	v_rcp_iflag_f32_e32 v2, v2
	v_nop
	v_mul_f32_e32 v2, 0x4f7ffffe, v2
	s_delay_alu instid0(VALU_DEP_1) | instskip(NEXT) | instid1(VALU_DEP_1)
	v_cvt_u32_f32_e32 v2, v2
	v_mul_lo_u32 v3, s3, v2
	s_delay_alu instid0(VALU_DEP_1) | instskip(NEXT) | instid1(VALU_DEP_1)
	v_mul_hi_u32 v3, v2, v3
	v_add_nc_u32_e32 v2, v2, v3
	s_delay_alu instid0(VALU_DEP_1) | instskip(NEXT) | instid1(VALU_DEP_1)
	v_mul_hi_u32 v2, v4, v2
	v_mul_lo_u32 v2, v2, s8
	s_delay_alu instid0(VALU_DEP_1) | instskip(NEXT) | instid1(VALU_DEP_1)
	v_sub_nc_u32_e32 v2, v4, v2
	v_subrev_nc_u32_e32 v3, s8, v2
	v_cmp_le_u32_e32 vcc_lo, s8, v2
	s_delay_alu instid0(VALU_DEP_2) | instskip(NEXT) | instid1(VALU_DEP_1)
	v_cndmask_b32_e32 v2, v2, v3, vcc_lo
	v_subrev_nc_u32_e32 v3, s8, v2
	v_cmp_le_u32_e32 vcc_lo, s8, v2
	s_delay_alu instid0(VALU_DEP_2)
	v_cndmask_b32_e32 v2, v2, v3, vcc_lo
.LBB5_9:
	s_or_b32 exec_lo, exec_lo, s2
	v_dual_mov_b32 v6, 0 :: v_dual_bitop2_b32 v7, s21, v1 bitop3:0x54
	s_cvt_f32_u32 s29, s20
	s_cvt_f32_u32 s30, s21
	s_sub_nc_u64 s[26:27], 0, s[20:21]
                                        ; implicit-def: $vgpr4_vgpr5
	s_mov_b32 s2, exec_lo
	v_cmpx_ne_u64_e32 0, v[6:7]
	s_xor_b32 s3, exec_lo, s2
	s_cbranch_execz .LBB5_11
; %bb.10:
	s_fmamk_f32 s2, s30, 0x4f800000, s29
	s_mov_b32 s37, 0
	v_dual_mov_b32 v4, v0 :: v_dual_mov_b32 v5, v6
	s_delay_alu instid0(SALU_CYCLE_1) | instskip(SKIP_2) | instid1(TRANS32_DEP_1)
	v_s_rcp_f32 s2, s2
	v_dual_mov_b32 v8, v1 :: v_dual_mov_b32 v9, v6
	v_dual_mov_b32 v13, v6 :: v_dual_mov_b32 v7, v6
	s_mul_f32 s2, s2, 0x5f7ffffc
	s_delay_alu instid0(SALU_CYCLE_3) | instskip(NEXT) | instid1(SALU_CYCLE_3)
	s_mul_f32 s24, s2, 0x2f800000
	s_trunc_f32 s24, s24
	s_delay_alu instid0(SALU_CYCLE_3) | instskip(SKIP_1) | instid1(SALU_CYCLE_2)
	s_fmamk_f32 s2, s24, 0xcf800000, s2
	s_cvt_u32_f32 s25, s24
	s_cvt_u32_f32 s24, s2
	s_delay_alu instid0(SALU_CYCLE_3) | instskip(NEXT) | instid1(SALU_CYCLE_1)
	s_mul_u64 s[34:35], s[26:27], s[24:25]
	s_mul_hi_u32 s39, s24, s35
	s_mul_i32 s38, s24, s35
	s_mul_hi_u32 s36, s24, s34
	s_mul_i32 s28, s25, s34
	s_add_nc_u64 s[38:39], s[36:37], s[38:39]
	s_mul_hi_u32 s2, s25, s34
	s_mul_hi_u32 s31, s25, s35
	s_add_co_u32 s28, s38, s28
	s_add_co_ci_u32 s36, s39, s2
	s_mul_i32 s34, s25, s35
	s_add_co_ci_u32 s35, s31, 0
	s_delay_alu instid0(SALU_CYCLE_1) | instskip(NEXT) | instid1(SALU_CYCLE_1)
	s_add_nc_u64 s[34:35], s[36:37], s[34:35]
	s_add_co_u32 s24, s24, s34
	s_cselect_b32 s2, -1, 0
	s_delay_alu instid0(SALU_CYCLE_1) | instskip(SKIP_1) | instid1(SALU_CYCLE_1)
	s_cmp_lg_u32 s2, 0
	s_add_co_ci_u32 s25, s25, s35
	s_mul_u64 s[34:35], s[26:27], s[24:25]
	s_delay_alu instid0(SALU_CYCLE_1)
	s_mul_hi_u32 s39, s24, s35
	s_mul_i32 s38, s24, s35
	s_mul_hi_u32 s36, s24, s34
	s_mul_i32 s28, s25, s34
	s_add_nc_u64 s[38:39], s[36:37], s[38:39]
	s_mul_hi_u32 s2, s25, s34
	s_mul_hi_u32 s31, s25, s35
	s_add_co_u32 s28, s38, s28
	s_add_co_ci_u32 s36, s39, s2
	s_mul_i32 s34, s25, s35
	s_add_co_ci_u32 s35, s31, 0
	s_delay_alu instid0(SALU_CYCLE_1) | instskip(NEXT) | instid1(SALU_CYCLE_1)
	s_add_nc_u64 s[34:35], s[36:37], s[34:35]
	s_add_co_u32 s2, s24, s34
	s_cselect_b32 s24, -1, 0
	v_mul_hi_u32 v12, v0, s2
	s_cmp_lg_u32 s24, 0
	s_add_co_ci_u32 s36, s25, s35
	s_mov_b64 s[24:25], 0xffffffff
	v_mul_u64_e32 v[4:5], s[36:37], v[4:5]
	s_and_b64 s[24:25], s[2:3], s[24:25]
	s_delay_alu instid0(SALU_CYCLE_1) | instskip(SKIP_1) | instid1(VALU_DEP_3)
	v_mul_u64_e32 v[10:11], s[24:25], v[8:9]
	v_mul_u64_e32 v[8:9], s[36:37], v[8:9]
	v_add_nc_u64_e32 v[4:5], v[12:13], v[4:5]
	s_delay_alu instid0(VALU_DEP_1) | instskip(NEXT) | instid1(VALU_DEP_2)
	v_add_co_u32 v3, vcc_lo, v4, v10
	v_add_co_ci_u32_e32 v6, vcc_lo, v5, v11, vcc_lo
	s_delay_alu instid0(VALU_DEP_4) | instskip(NEXT) | instid1(VALU_DEP_1)
	v_add_co_ci_u32_e32 v9, vcc_lo, 0, v9, vcc_lo
	v_add_nc_u64_e32 v[4:5], v[6:7], v[8:9]
	s_delay_alu instid0(VALU_DEP_1) | instskip(SKIP_1) | instid1(VALU_DEP_2)
	v_mul_u64_e32 v[6:7], s[20:21], v[4:5]
	v_add_nc_u64_e32 v[8:9], 2, v[4:5]
	v_sub_nc_u32_e32 v3, v1, v7
	s_delay_alu instid0(VALU_DEP_3) | instskip(NEXT) | instid1(VALU_DEP_1)
	v_sub_co_u32 v6, vcc_lo, v0, v6
	v_sub_co_ci_u32_e64 v12, null, v1, v7, vcc_lo
	s_delay_alu instid0(VALU_DEP_3) | instskip(NEXT) | instid1(VALU_DEP_3)
	v_subrev_co_ci_u32_e64 v3, null, s21, v3, vcc_lo
	v_sub_co_u32 v10, s2, v6, s20
	v_cmp_le_u32_e32 vcc_lo, s20, v6
	s_delay_alu instid0(VALU_DEP_3) | instskip(NEXT) | instid1(VALU_DEP_3)
	v_subrev_co_ci_u32_e64 v3, null, 0, v3, s2
	v_cmp_le_u32_e64 s2, s20, v10
	v_add_nc_u64_e32 v[6:7], 1, v[4:5]
	v_cndmask_b32_e64 v13, 0, -1, vcc_lo
	s_delay_alu instid0(VALU_DEP_4) | instskip(NEXT) | instid1(VALU_DEP_4)
	v_cmp_eq_u32_e32 vcc_lo, s21, v3
	v_cndmask_b32_e64 v10, 0, -1, s2
	v_cmp_le_u32_e64 s2, s21, v3
	s_delay_alu instid0(VALU_DEP_1) | instskip(SKIP_1) | instid1(VALU_DEP_2)
	v_cndmask_b32_e64 v11, 0, -1, s2
	v_cmp_eq_u32_e64 s2, s21, v12
	v_cndmask_b32_e32 v3, v11, v10, vcc_lo
	v_cmp_le_u32_e32 vcc_lo, s21, v12
	v_cndmask_b32_e64 v10, 0, -1, vcc_lo
	s_delay_alu instid0(VALU_DEP_3) | instskip(SKIP_1) | instid1(VALU_DEP_3)
	v_cmp_ne_u32_e32 vcc_lo, 0, v3
	v_cndmask_b32_e32 v7, v7, v9, vcc_lo
	v_cndmask_b32_e64 v3, v10, v13, s2
	v_cndmask_b32_e32 v6, v6, v8, vcc_lo
	s_delay_alu instid0(VALU_DEP_2) | instskip(NEXT) | instid1(VALU_DEP_2)
	v_cmp_ne_u32_e32 vcc_lo, 0, v3
	v_dual_cndmask_b32 v5, v5, v7 :: v_dual_cndmask_b32 v4, v4, v6
.LBB5_11:
	s_or_saveexec_b32 s2, s3
	v_cvt_f32_u32_e32 v12, s20
	s_xor_b32 exec_lo, exec_lo, s2
	s_cbranch_execz .LBB5_13
; %bb.12:
	s_delay_alu instid0(VALU_DEP_1) | instskip(SKIP_2) | instid1(TRANS32_DEP_1)
	v_rcp_iflag_f32_e32 v3, v12
	s_sub_co_i32 s3, 0, s20
	v_nop
	v_mul_f32_e32 v3, 0x4f7ffffe, v3
	s_delay_alu instid0(VALU_DEP_1) | instskip(NEXT) | instid1(VALU_DEP_1)
	v_cvt_u32_f32_e32 v3, v3
	v_mul_lo_u32 v4, s3, v3
	s_delay_alu instid0(VALU_DEP_1) | instskip(NEXT) | instid1(VALU_DEP_1)
	v_mul_hi_u32 v4, v3, v4
	v_add_nc_u32_e32 v3, v3, v4
	s_delay_alu instid0(VALU_DEP_1) | instskip(NEXT) | instid1(VALU_DEP_1)
	v_mul_hi_u32 v3, v0, v3
	v_mul_lo_u32 v4, v3, s20
	s_delay_alu instid0(VALU_DEP_1) | instskip(NEXT) | instid1(VALU_DEP_1)
	v_dual_add_nc_u32 v5, 1, v3 :: v_dual_sub_nc_u32 v4, v0, v4
	v_subrev_nc_u32_e32 v6, s20, v4
	v_cmp_le_u32_e32 vcc_lo, s20, v4
	s_delay_alu instid0(VALU_DEP_2) | instskip(NEXT) | instid1(VALU_DEP_1)
	v_dual_cndmask_b32 v4, v4, v6 :: v_dual_cndmask_b32 v3, v3, v5
	v_cmp_le_u32_e32 vcc_lo, s20, v4
	s_delay_alu instid0(VALU_DEP_2) | instskip(NEXT) | instid1(VALU_DEP_1)
	v_add_nc_u32_e32 v5, 1, v3
	v_dual_cndmask_b32 v4, v3, v5 :: v_dual_mov_b32 v5, 0
.LBB5_13:
	s_or_b32 exec_lo, exec_lo, s2
	v_dual_mov_b32 v8, 0 :: v_dual_bitop2_b32 v9, s19, v1 bitop3:0x54
	s_cvt_f32_u32 s3, s18
	s_cvt_f32_u32 s28, s19
	s_sub_nc_u64 s[24:25], 0, s[18:19]
                                        ; implicit-def: $vgpr6_vgpr7
	s_mov_b32 s2, exec_lo
	v_cmpx_ne_u64_e32 0, v[8:9]
	s_xor_b32 s31, exec_lo, s2
	s_cbranch_execz .LBB5_15
; %bb.14:
	s_fmamk_f32 s2, s28, 0x4f800000, s3
	s_mov_b32 s39, 0
	v_dual_mov_b32 v6, v0 :: v_dual_mov_b32 v7, v8
	s_delay_alu instid0(SALU_CYCLE_1) | instskip(SKIP_2) | instid1(TRANS32_DEP_1)
	v_s_rcp_f32 s2, s2
	v_dual_mov_b32 v10, v1 :: v_dual_mov_b32 v11, v8
	v_dual_mov_b32 v17, v8 :: v_dual_mov_b32 v9, v8
	s_mul_f32 s2, s2, 0x5f7ffffc
	s_delay_alu instid0(SALU_CYCLE_3) | instskip(NEXT) | instid1(SALU_CYCLE_3)
	s_mul_f32 s33, s2, 0x2f800000
	s_trunc_f32 s33, s33
	s_delay_alu instid0(SALU_CYCLE_3) | instskip(SKIP_1) | instid1(SALU_CYCLE_2)
	s_fmamk_f32 s2, s33, 0xcf800000, s2
	s_cvt_u32_f32 s35, s33
	s_cvt_u32_f32 s34, s2
	s_delay_alu instid0(SALU_CYCLE_3) | instskip(NEXT) | instid1(SALU_CYCLE_1)
	s_mul_u64 s[36:37], s[24:25], s[34:35]
	s_mul_hi_u32 s41, s34, s37
	s_mul_i32 s40, s34, s37
	s_mul_hi_u32 s38, s34, s36
	s_mul_i32 s33, s35, s36
	s_add_nc_u64 s[40:41], s[38:39], s[40:41]
	s_mul_hi_u32 s2, s35, s36
	s_mul_hi_u32 s42, s35, s37
	s_add_co_u32 s33, s40, s33
	s_add_co_ci_u32 s38, s41, s2
	s_mul_i32 s36, s35, s37
	s_add_co_ci_u32 s37, s42, 0
	s_delay_alu instid0(SALU_CYCLE_1) | instskip(NEXT) | instid1(SALU_CYCLE_1)
	s_add_nc_u64 s[36:37], s[38:39], s[36:37]
	s_add_co_u32 s34, s34, s36
	s_cselect_b32 s2, -1, 0
	s_delay_alu instid0(SALU_CYCLE_1) | instskip(SKIP_1) | instid1(SALU_CYCLE_1)
	s_cmp_lg_u32 s2, 0
	s_add_co_ci_u32 s35, s35, s37
	s_mul_u64 s[36:37], s[24:25], s[34:35]
	s_delay_alu instid0(SALU_CYCLE_1)
	s_mul_hi_u32 s41, s34, s37
	s_mul_i32 s40, s34, s37
	s_mul_hi_u32 s38, s34, s36
	s_mul_i32 s33, s35, s36
	s_add_nc_u64 s[40:41], s[38:39], s[40:41]
	s_mul_hi_u32 s2, s35, s36
	s_mul_hi_u32 s42, s35, s37
	s_add_co_u32 s33, s40, s33
	s_add_co_ci_u32 s38, s41, s2
	s_mul_i32 s36, s35, s37
	s_add_co_ci_u32 s37, s42, 0
	s_delay_alu instid0(SALU_CYCLE_1) | instskip(NEXT) | instid1(SALU_CYCLE_1)
	s_add_nc_u64 s[36:37], s[38:39], s[36:37]
	s_add_co_u32 s2, s34, s36
	s_cselect_b32 s33, -1, 0
	v_mul_hi_u32 v16, v0, s2
	s_cmp_lg_u32 s33, 0
	s_add_co_ci_u32 s38, s35, s37
	s_mov_b64 s[34:35], 0xffffffff
	v_mul_u64_e32 v[6:7], s[38:39], v[6:7]
	s_and_b64 s[34:35], s[2:3], s[34:35]
	s_delay_alu instid0(SALU_CYCLE_1) | instskip(SKIP_1) | instid1(VALU_DEP_3)
	v_mul_u64_e32 v[14:15], s[34:35], v[10:11]
	v_mul_u64_e32 v[10:11], s[38:39], v[10:11]
	v_add_nc_u64_e32 v[6:7], v[16:17], v[6:7]
	s_delay_alu instid0(VALU_DEP_1) | instskip(NEXT) | instid1(VALU_DEP_2)
	v_add_co_u32 v3, vcc_lo, v6, v14
	v_add_co_ci_u32_e32 v8, vcc_lo, v7, v15, vcc_lo
	s_delay_alu instid0(VALU_DEP_4) | instskip(NEXT) | instid1(VALU_DEP_1)
	v_add_co_ci_u32_e32 v11, vcc_lo, 0, v11, vcc_lo
	v_add_nc_u64_e32 v[6:7], v[8:9], v[10:11]
	s_delay_alu instid0(VALU_DEP_1) | instskip(SKIP_1) | instid1(VALU_DEP_2)
	v_mul_u64_e32 v[8:9], s[18:19], v[6:7]
	v_add_nc_u64_e32 v[10:11], 2, v[6:7]
	v_sub_nc_u32_e32 v3, v1, v9
	s_delay_alu instid0(VALU_DEP_3) | instskip(NEXT) | instid1(VALU_DEP_1)
	v_sub_co_u32 v8, vcc_lo, v0, v8
	v_sub_co_ci_u32_e64 v15, null, v1, v9, vcc_lo
	s_delay_alu instid0(VALU_DEP_3) | instskip(NEXT) | instid1(VALU_DEP_3)
	v_subrev_co_ci_u32_e64 v3, null, s19, v3, vcc_lo
	v_sub_co_u32 v13, s2, v8, s18
	v_cmp_le_u32_e32 vcc_lo, s18, v8
	s_delay_alu instid0(VALU_DEP_3) | instskip(NEXT) | instid1(VALU_DEP_3)
	v_subrev_co_ci_u32_e64 v3, null, 0, v3, s2
	v_cmp_le_u32_e64 s2, s18, v13
	v_add_nc_u64_e32 v[8:9], 1, v[6:7]
	v_cndmask_b32_e64 v16, 0, -1, vcc_lo
	s_delay_alu instid0(VALU_DEP_4) | instskip(NEXT) | instid1(VALU_DEP_4)
	v_cmp_eq_u32_e32 vcc_lo, s19, v3
	v_cndmask_b32_e64 v13, 0, -1, s2
	v_cmp_le_u32_e64 s2, s19, v3
	s_delay_alu instid0(VALU_DEP_1) | instskip(SKIP_1) | instid1(VALU_DEP_2)
	v_cndmask_b32_e64 v14, 0, -1, s2
	v_cmp_eq_u32_e64 s2, s19, v15
	v_cndmask_b32_e32 v3, v14, v13, vcc_lo
	v_cmp_le_u32_e32 vcc_lo, s19, v15
	v_cndmask_b32_e64 v13, 0, -1, vcc_lo
	s_delay_alu instid0(VALU_DEP_3) | instskip(SKIP_1) | instid1(VALU_DEP_3)
	v_cmp_ne_u32_e32 vcc_lo, 0, v3
	v_cndmask_b32_e32 v9, v9, v11, vcc_lo
	v_dual_cndmask_b32 v3, v13, v16, s2 :: v_dual_cndmask_b32 v8, v8, v10, vcc_lo
	s_delay_alu instid0(VALU_DEP_1) | instskip(NEXT) | instid1(VALU_DEP_2)
	v_cmp_ne_u32_e32 vcc_lo, 0, v3
	v_dual_cndmask_b32 v7, v7, v9 :: v_dual_cndmask_b32 v6, v6, v8
.LBB5_15:
	s_or_saveexec_b32 s2, s31
	v_cvt_f32_u32_e32 v3, s18
	s_xor_b32 exec_lo, exec_lo, s2
	s_cbranch_execz .LBB5_17
; %bb.16:
	s_delay_alu instid0(VALU_DEP_1) | instskip(SKIP_2) | instid1(TRANS32_DEP_1)
	v_rcp_iflag_f32_e32 v6, v3
	s_sub_co_i32 s31, 0, s18
	v_nop
	v_mul_f32_e32 v6, 0x4f7ffffe, v6
	s_delay_alu instid0(VALU_DEP_1) | instskip(NEXT) | instid1(VALU_DEP_1)
	v_cvt_u32_f32_e32 v6, v6
	v_mul_lo_u32 v7, s31, v6
	s_delay_alu instid0(VALU_DEP_1) | instskip(NEXT) | instid1(VALU_DEP_1)
	v_mul_hi_u32 v7, v6, v7
	v_add_nc_u32_e32 v6, v6, v7
	s_delay_alu instid0(VALU_DEP_1) | instskip(NEXT) | instid1(VALU_DEP_1)
	v_mul_hi_u32 v6, v0, v6
	v_mul_lo_u32 v7, v6, s18
	s_delay_alu instid0(VALU_DEP_1) | instskip(NEXT) | instid1(VALU_DEP_1)
	v_dual_add_nc_u32 v8, 1, v6 :: v_dual_sub_nc_u32 v7, v0, v7
	v_subrev_nc_u32_e32 v9, s18, v7
	v_cmp_le_u32_e32 vcc_lo, s18, v7
	s_delay_alu instid0(VALU_DEP_2) | instskip(NEXT) | instid1(VALU_DEP_1)
	v_dual_cndmask_b32 v7, v7, v9 :: v_dual_cndmask_b32 v6, v6, v8
	v_cmp_le_u32_e32 vcc_lo, s18, v7
	s_delay_alu instid0(VALU_DEP_2) | instskip(NEXT) | instid1(VALU_DEP_1)
	v_dual_mov_b32 v7, 0 :: v_dual_add_nc_u32 v8, 1, v6
	v_cndmask_b32_e32 v6, v6, v8, vcc_lo
.LBB5_17:
	s_or_b32 exec_lo, exec_lo, s2
	s_delay_alu instid0(VALU_DEP_2) | instskip(SKIP_1) | instid1(VALU_DEP_1)
	v_dual_mov_b32 v10, 0 :: v_dual_bitop2_b32 v11, s21, v7 bitop3:0x54
                                        ; implicit-def: $vgpr8_vgpr9
	s_mov_b32 s2, exec_lo
	v_cmpx_ne_u64_e32 0, v[10:11]
	s_xor_b32 s31, exec_lo, s2
	s_cbranch_execz .LBB5_19
; %bb.18:
	s_fmamk_f32 s2, s30, 0x4f800000, s29
	s_mov_b32 s39, 0
	v_dual_mov_b32 v8, v6 :: v_dual_mov_b32 v9, v10
	s_delay_alu instid0(SALU_CYCLE_1) | instskip(SKIP_2) | instid1(TRANS32_DEP_1)
	v_s_rcp_f32 s2, s2
	v_dual_mov_b32 v12, v7 :: v_dual_mov_b32 v13, v10
	v_dual_mov_b32 v17, v10 :: v_dual_mov_b32 v11, v10
	s_mul_f32 s2, s2, 0x5f7ffffc
	s_delay_alu instid0(SALU_CYCLE_3) | instskip(NEXT) | instid1(SALU_CYCLE_3)
	s_mul_f32 s29, s2, 0x2f800000
	s_trunc_f32 s29, s29
	s_delay_alu instid0(SALU_CYCLE_3) | instskip(SKIP_1) | instid1(SALU_CYCLE_2)
	s_fmamk_f32 s2, s29, 0xcf800000, s2
	s_cvt_u32_f32 s35, s29
	s_cvt_u32_f32 s34, s2
	s_delay_alu instid0(SALU_CYCLE_3) | instskip(NEXT) | instid1(SALU_CYCLE_1)
	s_mul_u64 s[36:37], s[26:27], s[34:35]
	s_mul_hi_u32 s41, s34, s37
	s_mul_i32 s40, s34, s37
	s_mul_hi_u32 s38, s34, s36
	s_mul_i32 s29, s35, s36
	s_add_nc_u64 s[40:41], s[38:39], s[40:41]
	s_mul_hi_u32 s2, s35, s36
	s_mul_hi_u32 s30, s35, s37
	s_add_co_u32 s29, s40, s29
	s_add_co_ci_u32 s38, s41, s2
	s_mul_i32 s36, s35, s37
	s_add_co_ci_u32 s37, s30, 0
	s_delay_alu instid0(SALU_CYCLE_1) | instskip(NEXT) | instid1(SALU_CYCLE_1)
	s_add_nc_u64 s[36:37], s[38:39], s[36:37]
	s_add_co_u32 s34, s34, s36
	s_cselect_b32 s2, -1, 0
	s_delay_alu instid0(SALU_CYCLE_1) | instskip(SKIP_1) | instid1(SALU_CYCLE_1)
	s_cmp_lg_u32 s2, 0
	s_add_co_ci_u32 s35, s35, s37
	s_mul_u64 s[26:27], s[26:27], s[34:35]
	s_delay_alu instid0(SALU_CYCLE_1)
	s_mul_hi_u32 s37, s34, s27
	s_mul_i32 s36, s34, s27
	s_mul_hi_u32 s38, s34, s26
	s_mul_i32 s29, s35, s26
	s_add_nc_u64 s[36:37], s[38:39], s[36:37]
	s_mul_hi_u32 s2, s35, s26
	s_mul_hi_u32 s30, s35, s27
	s_mul_i32 s26, s35, s27
	s_add_co_u32 s27, s36, s29
	s_add_co_ci_u32 s38, s37, s2
	s_add_co_ci_u32 s27, s30, 0
	s_delay_alu instid0(SALU_CYCLE_1) | instskip(NEXT) | instid1(SALU_CYCLE_1)
	s_add_nc_u64 s[26:27], s[38:39], s[26:27]
	s_add_co_u32 s2, s34, s26
	s_cselect_b32 s26, -1, 0
	v_mul_hi_u32 v16, v6, s2
	s_cmp_lg_u32 s26, 0
	s_add_co_ci_u32 s38, s35, s27
	s_mov_b64 s[26:27], 0xffffffff
	v_mul_u64_e32 v[8:9], s[38:39], v[8:9]
	s_and_b64 s[26:27], s[2:3], s[26:27]
	s_delay_alu instid0(SALU_CYCLE_1) | instskip(SKIP_1) | instid1(VALU_DEP_3)
	v_mul_u64_e32 v[14:15], s[26:27], v[12:13]
	v_mul_u64_e32 v[12:13], s[38:39], v[12:13]
	v_add_nc_u64_e32 v[8:9], v[16:17], v[8:9]
	s_delay_alu instid0(VALU_DEP_1) | instskip(NEXT) | instid1(VALU_DEP_2)
	v_add_co_u32 v8, vcc_lo, v8, v14
	v_add_co_ci_u32_e32 v10, vcc_lo, v9, v15, vcc_lo
	s_delay_alu instid0(VALU_DEP_4) | instskip(NEXT) | instid1(VALU_DEP_1)
	v_add_co_ci_u32_e32 v13, vcc_lo, 0, v13, vcc_lo
	v_add_nc_u64_e32 v[8:9], v[10:11], v[12:13]
	s_delay_alu instid0(VALU_DEP_1) | instskip(NEXT) | instid1(VALU_DEP_1)
	v_mul_u64_e32 v[10:11], s[20:21], v[8:9]
	v_sub_nc_u32_e32 v12, v7, v11
	s_delay_alu instid0(VALU_DEP_2) | instskip(NEXT) | instid1(VALU_DEP_1)
	v_sub_co_u32 v6, vcc_lo, v6, v10
	v_sub_co_ci_u32_e64 v11, null, v7, v11, vcc_lo
	s_delay_alu instid0(VALU_DEP_3) | instskip(NEXT) | instid1(VALU_DEP_3)
	v_subrev_co_ci_u32_e64 v10, null, s21, v12, vcc_lo
	v_sub_co_u32 v14, s2, v6, s20
	v_cmp_le_u32_e32 vcc_lo, s20, v6
	s_delay_alu instid0(VALU_DEP_3) | instskip(NEXT) | instid1(VALU_DEP_3)
	v_subrev_co_ci_u32_e64 v10, null, 0, v10, s2
	v_cmp_le_u32_e64 s2, s20, v14
	v_add_nc_u64_e32 v[12:13], 2, v[8:9]
	v_cndmask_b32_e64 v16, 0, -1, vcc_lo
	s_delay_alu instid0(VALU_DEP_4) | instskip(SKIP_3) | instid1(VALU_DEP_1)
	v_cmp_eq_u32_e32 vcc_lo, s21, v10
	v_add_nc_u64_e32 v[6:7], 1, v[8:9]
	v_cndmask_b32_e64 v14, 0, -1, s2
	v_cmp_le_u32_e64 s2, s21, v10
	v_cndmask_b32_e64 v15, 0, -1, s2
	v_cmp_eq_u32_e64 s2, s21, v11
	s_delay_alu instid0(VALU_DEP_2) | instskip(SKIP_2) | instid1(VALU_DEP_3)
	v_cndmask_b32_e32 v10, v15, v14, vcc_lo
	v_cmp_le_u32_e32 vcc_lo, s21, v11
	v_cndmask_b32_e64 v14, 0, -1, vcc_lo
	v_cmp_ne_u32_e32 vcc_lo, 0, v10
	s_delay_alu instid0(VALU_DEP_2) | instskip(SKIP_1) | instid1(VALU_DEP_2)
	v_cndmask_b32_e64 v10, v14, v16, s2
	v_dual_cndmask_b32 v6, v6, v12 :: v_dual_cndmask_b32 v7, v7, v13
                                        ; implicit-def: $vgpr12
	v_cmp_ne_u32_e32 vcc_lo, 0, v10
	s_delay_alu instid0(VALU_DEP_2)
	v_dual_cndmask_b32 v8, v8, v6 :: v_dual_cndmask_b32 v9, v9, v7
                                        ; implicit-def: $vgpr6_vgpr7
.LBB5_19:
	s_and_not1_saveexec_b32 s2, s31
	s_cbranch_execz .LBB5_21
; %bb.20:
	v_rcp_iflag_f32_e32 v7, v12
	s_sub_co_i32 s26, 0, s20
	v_nop
	s_delay_alu instid0(TRANS32_DEP_1) | instskip(NEXT) | instid1(VALU_DEP_1)
	v_mul_f32_e32 v7, 0x4f7ffffe, v7
	v_cvt_u32_f32_e32 v7, v7
	s_delay_alu instid0(VALU_DEP_1) | instskip(NEXT) | instid1(VALU_DEP_1)
	v_mul_lo_u32 v8, s26, v7
	v_mul_hi_u32 v8, v7, v8
	s_delay_alu instid0(VALU_DEP_1) | instskip(NEXT) | instid1(VALU_DEP_1)
	v_add_nc_u32_e32 v7, v7, v8
	v_mul_hi_u32 v7, v6, v7
	s_delay_alu instid0(VALU_DEP_1) | instskip(NEXT) | instid1(VALU_DEP_1)
	v_mul_lo_u32 v8, v7, s20
	v_dual_sub_nc_u32 v6, v6, v8 :: v_dual_add_nc_u32 v8, 1, v7
	s_delay_alu instid0(VALU_DEP_1) | instskip(SKIP_1) | instid1(VALU_DEP_2)
	v_subrev_nc_u32_e32 v9, s20, v6
	v_cmp_le_u32_e32 vcc_lo, s20, v6
	v_dual_cndmask_b32 v6, v6, v9 :: v_dual_mov_b32 v9, 0
	s_delay_alu instid0(VALU_DEP_4) | instskip(NEXT) | instid1(VALU_DEP_2)
	v_cndmask_b32_e32 v7, v7, v8, vcc_lo
	v_cmp_le_u32_e32 vcc_lo, s20, v6
	s_delay_alu instid0(VALU_DEP_2) | instskip(NEXT) | instid1(VALU_DEP_1)
	v_add_nc_u32_e32 v8, 1, v7
	v_cndmask_b32_e32 v8, v7, v8, vcc_lo
.LBB5_21:
	s_or_b32 exec_lo, exec_lo, s2
	s_delay_alu instid0(VALU_DEP_1) | instskip(SKIP_1) | instid1(VALU_DEP_1)
	v_dual_mov_b32 v10, 0 :: v_dual_bitop2_b32 v11, s17, v9 bitop3:0x54
                                        ; implicit-def: $vgpr6_vgpr7
	s_mov_b32 s2, exec_lo
	v_cmpx_ne_u64_e32 0, v[10:11]
	s_xor_b32 s26, exec_lo, s2
	s_cbranch_execz .LBB5_23
; %bb.22:
	s_cvt_f32_u32 s2, s16
	s_cvt_f32_u32 s27, s17
	s_sub_nc_u64 s[34:35], 0, s[16:17]
	s_mov_b32 s39, 0
	v_dual_mov_b32 v6, v8 :: v_dual_mov_b32 v7, v10
	s_fmamk_f32 s2, s27, 0x4f800000, s2
	v_dual_mov_b32 v12, v9 :: v_dual_mov_b32 v13, v10
	v_dual_mov_b32 v17, v10 :: v_dual_mov_b32 v11, v10
	s_delay_alu instid0(SALU_CYCLE_1) | instskip(NEXT) | instid1(TRANS32_DEP_1)
	v_s_rcp_f32 s2, s2
	s_mul_f32 s2, s2, 0x5f7ffffc
	s_delay_alu instid0(SALU_CYCLE_3) | instskip(NEXT) | instid1(SALU_CYCLE_3)
	s_mul_f32 s27, s2, 0x2f800000
	s_trunc_f32 s27, s27
	s_delay_alu instid0(SALU_CYCLE_3) | instskip(SKIP_1) | instid1(SALU_CYCLE_2)
	s_fmamk_f32 s2, s27, 0xcf800000, s2
	s_cvt_u32_f32 s31, s27
	s_cvt_u32_f32 s30, s2
	s_delay_alu instid0(SALU_CYCLE_3) | instskip(NEXT) | instid1(SALU_CYCLE_1)
	s_mul_u64 s[36:37], s[34:35], s[30:31]
	s_mul_hi_u32 s41, s30, s37
	s_mul_i32 s40, s30, s37
	s_mul_hi_u32 s38, s30, s36
	s_mul_i32 s27, s31, s36
	s_add_nc_u64 s[40:41], s[38:39], s[40:41]
	s_mul_hi_u32 s2, s31, s36
	s_mul_hi_u32 s29, s31, s37
	s_add_co_u32 s27, s40, s27
	s_add_co_ci_u32 s38, s41, s2
	s_mul_i32 s36, s31, s37
	s_add_co_ci_u32 s37, s29, 0
	s_delay_alu instid0(SALU_CYCLE_1) | instskip(NEXT) | instid1(SALU_CYCLE_1)
	s_add_nc_u64 s[36:37], s[38:39], s[36:37]
	s_add_co_u32 s30, s30, s36
	s_cselect_b32 s2, -1, 0
	s_delay_alu instid0(SALU_CYCLE_1) | instskip(SKIP_1) | instid1(SALU_CYCLE_1)
	s_cmp_lg_u32 s2, 0
	s_add_co_ci_u32 s31, s31, s37
	s_mul_u64 s[34:35], s[34:35], s[30:31]
	s_delay_alu instid0(SALU_CYCLE_1)
	s_mul_hi_u32 s37, s30, s35
	s_mul_i32 s36, s30, s35
	s_mul_hi_u32 s38, s30, s34
	s_mul_i32 s27, s31, s34
	s_add_nc_u64 s[36:37], s[38:39], s[36:37]
	s_mul_hi_u32 s2, s31, s34
	s_mul_hi_u32 s29, s31, s35
	s_add_co_u32 s27, s36, s27
	s_add_co_ci_u32 s38, s37, s2
	s_mul_i32 s34, s31, s35
	s_add_co_ci_u32 s35, s29, 0
	s_delay_alu instid0(SALU_CYCLE_1) | instskip(NEXT) | instid1(SALU_CYCLE_1)
	s_add_nc_u64 s[34:35], s[38:39], s[34:35]
	s_add_co_u32 s2, s30, s34
	s_cselect_b32 s27, -1, 0
	v_nop
	v_mul_hi_u32 v16, v8, s2
	s_cmp_lg_u32 s27, 0
	s_add_co_ci_u32 s38, s31, s35
	s_mov_b64 s[30:31], 0xffffffff
	v_mul_u64_e32 v[6:7], s[38:39], v[6:7]
	s_and_b64 s[30:31], s[2:3], s[30:31]
	s_delay_alu instid0(SALU_CYCLE_1) | instskip(SKIP_1) | instid1(VALU_DEP_3)
	v_mul_u64_e32 v[14:15], s[30:31], v[12:13]
	v_mul_u64_e32 v[12:13], s[38:39], v[12:13]
	v_add_nc_u64_e32 v[6:7], v[16:17], v[6:7]
	s_delay_alu instid0(VALU_DEP_1) | instskip(NEXT) | instid1(VALU_DEP_2)
	v_add_co_u32 v6, vcc_lo, v6, v14
	v_add_co_ci_u32_e32 v10, vcc_lo, v7, v15, vcc_lo
	s_delay_alu instid0(VALU_DEP_4) | instskip(NEXT) | instid1(VALU_DEP_1)
	v_add_co_ci_u32_e32 v13, vcc_lo, 0, v13, vcc_lo
	v_add_nc_u64_e32 v[6:7], v[10:11], v[12:13]
	s_delay_alu instid0(VALU_DEP_1) | instskip(NEXT) | instid1(VALU_DEP_1)
	v_mul_u64_e32 v[6:7], s[16:17], v[6:7]
	v_sub_nc_u32_e32 v10, v9, v7
	s_delay_alu instid0(VALU_DEP_2) | instskip(NEXT) | instid1(VALU_DEP_1)
	v_sub_co_u32 v6, vcc_lo, v8, v6
	v_sub_co_ci_u32_e64 v7, null, v9, v7, vcc_lo
	s_delay_alu instid0(VALU_DEP_3) | instskip(NEXT) | instid1(VALU_DEP_3)
	v_subrev_co_ci_u32_e64 v8, null, s17, v10, vcc_lo
	v_sub_co_u32 v9, vcc_lo, v6, s16
	v_cmp_le_u32_e64 s2, s16, v6
	s_delay_alu instid0(VALU_DEP_3) | instskip(SKIP_1) | instid1(VALU_DEP_3)
	v_subrev_co_ci_u32_e64 v10, null, 0, v8, vcc_lo
	v_subrev_co_ci_u32_e64 v8, null, s17, v8, vcc_lo
	v_cndmask_b32_e64 v11, 0, -1, s2
	v_cmp_le_u32_e64 s2, s16, v9
	v_cmp_le_u32_e32 vcc_lo, s17, v7
	s_delay_alu instid0(VALU_DEP_2) | instskip(SKIP_3) | instid1(VALU_DEP_3)
	v_cndmask_b32_e64 v12, 0, -1, s2
	v_cmp_le_u32_e64 s2, s17, v10
	v_cndmask_b32_e64 v14, 0, -1, vcc_lo
	v_cmp_eq_u32_e32 vcc_lo, s17, v10
	v_cndmask_b32_e64 v13, 0, -1, s2
	s_delay_alu instid0(VALU_DEP_1) | instskip(SKIP_1) | instid1(VALU_DEP_1)
	v_cndmask_b32_e32 v10, v13, v12, vcc_lo
	v_sub_co_u32 v12, vcc_lo, v9, s16
	v_subrev_co_ci_u32_e64 v8, null, 0, v8, vcc_lo
	v_cmp_eq_u32_e32 vcc_lo, s17, v7
	v_cndmask_b32_e32 v7, v14, v11, vcc_lo
	v_cmp_ne_u32_e32 vcc_lo, 0, v10
	v_cndmask_b32_e32 v8, v9, v12, vcc_lo
	s_delay_alu instid0(VALU_DEP_3) | instskip(NEXT) | instid1(VALU_DEP_2)
	v_cmp_ne_u32_e32 vcc_lo, 0, v7
	v_cndmask_b32_e32 v6, v6, v8, vcc_lo
                                        ; implicit-def: $vgpr8_vgpr9
.LBB5_23:
	s_and_not1_saveexec_b32 s2, s26
	s_cbranch_execz .LBB5_25
; %bb.24:
	v_cvt_f32_u32_e32 v6, s16
	s_sub_co_i32 s26, 0, s16
	s_delay_alu instid0(VALU_DEP_1) | instskip(SKIP_1) | instid1(TRANS32_DEP_1)
	v_rcp_iflag_f32_e32 v6, v6
	v_nop
	v_mul_f32_e32 v6, 0x4f7ffffe, v6
	s_delay_alu instid0(VALU_DEP_1) | instskip(NEXT) | instid1(VALU_DEP_1)
	v_cvt_u32_f32_e32 v6, v6
	v_mul_lo_u32 v7, s26, v6
	s_delay_alu instid0(VALU_DEP_1) | instskip(NEXT) | instid1(VALU_DEP_1)
	v_mul_hi_u32 v7, v6, v7
	v_add_nc_u32_e32 v6, v6, v7
	s_delay_alu instid0(VALU_DEP_1) | instskip(NEXT) | instid1(VALU_DEP_1)
	v_mul_hi_u32 v6, v8, v6
	v_mul_lo_u32 v6, v6, s16
	s_delay_alu instid0(VALU_DEP_1) | instskip(NEXT) | instid1(VALU_DEP_1)
	v_sub_nc_u32_e32 v6, v8, v6
	v_subrev_nc_u32_e32 v7, s16, v6
	v_cmp_le_u32_e32 vcc_lo, s16, v6
	s_delay_alu instid0(VALU_DEP_2) | instskip(NEXT) | instid1(VALU_DEP_1)
	v_cndmask_b32_e32 v6, v6, v7, vcc_lo
	v_subrev_nc_u32_e32 v7, s16, v6
	v_cmp_le_u32_e32 vcc_lo, s16, v6
	s_delay_alu instid0(VALU_DEP_2)
	v_cndmask_b32_e32 v6, v6, v7, vcc_lo
.LBB5_25:
	s_or_b32 exec_lo, exec_lo, s2
	v_dual_mov_b32 v8, 0 :: v_dual_bitop2_b32 v9, s19, v5 bitop3:0x54
                                        ; implicit-def: $vgpr10_vgpr11
	s_mov_b32 s2, exec_lo
	s_delay_alu instid0(VALU_DEP_1)
	v_cmpx_ne_u64_e32 0, v[8:9]
	s_xor_b32 s26, exec_lo, s2
	s_cbranch_execz .LBB5_27
; %bb.26:
	s_fmamk_f32 s2, s28, 0x4f800000, s3
	s_mov_b32 s31, 0
	v_dual_mov_b32 v10, v4 :: v_dual_mov_b32 v11, v8
	s_delay_alu instid0(SALU_CYCLE_1) | instskip(SKIP_2) | instid1(TRANS32_DEP_1)
	v_s_rcp_f32 s2, s2
	v_dual_mov_b32 v12, v5 :: v_dual_mov_b32 v13, v8
	v_dual_mov_b32 v17, v8 :: v_dual_mov_b32 v9, v8
	s_mul_f32 s2, s2, 0x5f7ffffc
	s_delay_alu instid0(SALU_CYCLE_3) | instskip(NEXT) | instid1(SALU_CYCLE_3)
	s_mul_f32 s3, s2, 0x2f800000
	s_trunc_f32 s3, s3
	s_delay_alu instid0(SALU_CYCLE_3) | instskip(SKIP_1) | instid1(SALU_CYCLE_2)
	s_fmamk_f32 s2, s3, 0xcf800000, s2
	s_cvt_u32_f32 s3, s3
	s_cvt_u32_f32 s2, s2
	s_delay_alu instid0(SALU_CYCLE_3) | instskip(NEXT) | instid1(SALU_CYCLE_1)
	s_mul_u64 s[28:29], s[24:25], s[2:3]
	s_mul_hi_u32 s35, s2, s29
	s_mul_i32 s34, s2, s29
	s_mul_hi_u32 s30, s2, s28
	s_mul_i32 s33, s3, s28
	s_add_nc_u64 s[34:35], s[30:31], s[34:35]
	s_mul_hi_u32 s27, s3, s28
	s_mul_hi_u32 s36, s3, s29
	s_mul_i32 s28, s3, s29
	s_add_co_u32 s29, s34, s33
	s_add_co_ci_u32 s30, s35, s27
	s_add_co_ci_u32 s29, s36, 0
	s_delay_alu instid0(SALU_CYCLE_1) | instskip(NEXT) | instid1(SALU_CYCLE_1)
	s_add_nc_u64 s[28:29], s[30:31], s[28:29]
	s_add_co_u32 s2, s2, s28
	s_cselect_b32 s27, -1, 0
	s_delay_alu instid0(SALU_CYCLE_1) | instskip(SKIP_1) | instid1(SALU_CYCLE_1)
	s_cmp_lg_u32 s27, 0
	s_add_co_ci_u32 s3, s3, s29
	s_mul_u64 s[24:25], s[24:25], s[2:3]
	s_delay_alu instid0(SALU_CYCLE_1)
	s_mul_hi_u32 s29, s2, s25
	s_mul_i32 s28, s2, s25
	s_mul_hi_u32 s30, s2, s24
	s_mul_i32 s33, s3, s24
	s_add_nc_u64 s[28:29], s[30:31], s[28:29]
	s_mul_hi_u32 s27, s3, s24
	s_mul_hi_u32 s34, s3, s25
	s_mul_i32 s24, s3, s25
	s_add_co_u32 s25, s28, s33
	s_add_co_ci_u32 s30, s29, s27
	s_add_co_ci_u32 s25, s34, 0
	s_delay_alu instid0(SALU_CYCLE_1) | instskip(NEXT) | instid1(SALU_CYCLE_1)
	s_add_nc_u64 s[24:25], s[30:31], s[24:25]
	s_add_co_u32 s2, s2, s24
	s_cselect_b32 s24, -1, 0
	v_mul_hi_u32 v16, v4, s2
	s_cmp_lg_u32 s24, 0
	s_add_co_ci_u32 s30, s3, s25
	s_mov_b64 s[24:25], 0xffffffff
	v_mul_u64_e32 v[10:11], s[30:31], v[10:11]
	s_and_b64 s[24:25], s[2:3], s[24:25]
	s_delay_alu instid0(SALU_CYCLE_1) | instskip(SKIP_1) | instid1(VALU_DEP_3)
	v_mul_u64_e32 v[14:15], s[24:25], v[12:13]
	v_mul_u64_e32 v[12:13], s[30:31], v[12:13]
	v_add_nc_u64_e32 v[10:11], v[16:17], v[10:11]
	s_delay_alu instid0(VALU_DEP_1) | instskip(NEXT) | instid1(VALU_DEP_2)
	v_add_co_u32 v3, vcc_lo, v10, v14
	v_add_co_ci_u32_e32 v8, vcc_lo, v11, v15, vcc_lo
	s_delay_alu instid0(VALU_DEP_4) | instskip(NEXT) | instid1(VALU_DEP_1)
	v_add_co_ci_u32_e32 v13, vcc_lo, 0, v13, vcc_lo
	v_add_nc_u64_e32 v[8:9], v[8:9], v[12:13]
	s_delay_alu instid0(VALU_DEP_1) | instskip(NEXT) | instid1(VALU_DEP_1)
	v_mul_u64_e32 v[8:9], s[18:19], v[8:9]
	v_sub_nc_u32_e32 v3, v5, v9
	s_delay_alu instid0(VALU_DEP_2) | instskip(NEXT) | instid1(VALU_DEP_1)
	v_sub_co_u32 v7, vcc_lo, v4, v8
	v_sub_co_ci_u32_e64 v5, null, v5, v9, vcc_lo
	s_delay_alu instid0(VALU_DEP_3) | instskip(NEXT) | instid1(VALU_DEP_3)
	v_subrev_co_ci_u32_e64 v3, null, s19, v3, vcc_lo
	v_sub_co_u32 v8, vcc_lo, v7, s18
	v_cmp_le_u32_e64 s2, s18, v7
	s_delay_alu instid0(VALU_DEP_3) | instskip(SKIP_1) | instid1(VALU_DEP_3)
	v_subrev_co_ci_u32_e64 v9, null, 0, v3, vcc_lo
	v_subrev_co_ci_u32_e64 v3, null, s19, v3, vcc_lo
	v_cndmask_b32_e64 v10, 0, -1, s2
	v_cmp_le_u32_e64 s2, s18, v8
	v_cmp_le_u32_e32 vcc_lo, s19, v5
	s_delay_alu instid0(VALU_DEP_2) | instskip(SKIP_3) | instid1(VALU_DEP_3)
	v_cndmask_b32_e64 v11, 0, -1, s2
	v_cmp_le_u32_e64 s2, s19, v9
	v_cndmask_b32_e64 v13, 0, -1, vcc_lo
	v_cmp_eq_u32_e32 vcc_lo, s19, v9
	v_cndmask_b32_e64 v12, 0, -1, s2
	s_delay_alu instid0(VALU_DEP_1) | instskip(SKIP_1) | instid1(VALU_DEP_1)
	v_cndmask_b32_e32 v9, v12, v11, vcc_lo
	v_sub_co_u32 v11, vcc_lo, v8, s18
	v_subrev_co_ci_u32_e64 v3, null, 0, v3, vcc_lo
	v_cmp_eq_u32_e32 vcc_lo, s19, v5
	v_cndmask_b32_e32 v3, v13, v10, vcc_lo
	v_cmp_ne_u32_e32 vcc_lo, 0, v9
	v_cndmask_b32_e32 v5, v8, v11, vcc_lo
	s_delay_alu instid0(VALU_DEP_3) | instskip(NEXT) | instid1(VALU_DEP_2)
	v_cmp_ne_u32_e32 vcc_lo, 0, v3
                                        ; implicit-def: $vgpr3
	v_cndmask_b32_e32 v10, v7, v5, vcc_lo
.LBB5_27:
	s_and_not1_saveexec_b32 s2, s26
	s_cbranch_execz .LBB5_29
; %bb.28:
	v_rcp_iflag_f32_e32 v3, v3
	s_sub_co_i32 s3, 0, s18
	v_nop
	s_delay_alu instid0(TRANS32_DEP_1) | instskip(NEXT) | instid1(VALU_DEP_1)
	v_mul_f32_e32 v3, 0x4f7ffffe, v3
	v_cvt_u32_f32_e32 v3, v3
	s_delay_alu instid0(VALU_DEP_1) | instskip(NEXT) | instid1(VALU_DEP_1)
	v_mul_lo_u32 v5, s3, v3
	v_mul_hi_u32 v5, v3, v5
	s_delay_alu instid0(VALU_DEP_1) | instskip(NEXT) | instid1(VALU_DEP_1)
	v_add_nc_u32_e32 v3, v3, v5
	v_mul_hi_u32 v3, v4, v3
	s_delay_alu instid0(VALU_DEP_1) | instskip(NEXT) | instid1(VALU_DEP_1)
	v_mul_lo_u32 v3, v3, s18
	v_sub_nc_u32_e32 v3, v4, v3
	s_delay_alu instid0(VALU_DEP_1) | instskip(SKIP_1) | instid1(VALU_DEP_2)
	v_subrev_nc_u32_e32 v5, s18, v3
	v_cmp_le_u32_e32 vcc_lo, s18, v3
	v_cndmask_b32_e32 v3, v3, v5, vcc_lo
	s_delay_alu instid0(VALU_DEP_1) | instskip(SKIP_1) | instid1(VALU_DEP_2)
	v_subrev_nc_u32_e32 v5, s18, v3
	v_cmp_le_u32_e32 vcc_lo, s18, v3
	v_cndmask_b32_e32 v10, v3, v5, vcc_lo
.LBB5_29:
	s_or_b32 exec_lo, exec_lo, s2
	v_mul_lo_u32 v3, v4, s20
	s_load_b96 s[0:2], s[0:1], 0x50
	s_delay_alu instid0(VALU_DEP_2) | instskip(SKIP_1) | instid1(VALU_DEP_2)
	v_cvt_f32_i32_e32 v4, v10
	v_cvt_f32_i32_e32 v5, v6
	v_dual_ashrrev_i32 v8, 31, v2 :: v_dual_add_f32 v4, 0.5, v4
	s_delay_alu instid0(VALU_DEP_2) | instskip(SKIP_1) | instid1(VALU_DEP_2)
	v_dual_add_f32 v5, 0.5, v5 :: v_dual_sub_nc_u32 v3, v0, v3
	v_lshl_add_u64 v[0:1], v[0:1], 3, s[22:23]
	v_cvt_f32_i32_e32 v3, v3
	s_wait_kmcnt 0x0
	s_delay_alu instid0(VALU_DEP_1) | instskip(SKIP_2) | instid1(VALU_DEP_2)
	v_dual_add_f32 v3, 0.5, v3 :: v_dual_mul_f32 v6, s1, v4
	v_mul_f32_e32 v5, s0, v5
	s_mul_u64 s[0:1], s[14:15], s[12:13]
	v_mul_f32_e32 v3, s2, v3
	s_mul_u64 s[0:1], s[0:1], s[10:11]
	s_mul_u64 s[2:3], s[20:21], s[18:19]
	s_delay_alu instid0(SALU_CYCLE_1) | instskip(NEXT) | instid1(VALU_DEP_1)
	s_mul_u64 s[2:3], s[2:3], s[16:17]
	v_floor_f32_e32 v3, v3
	s_mul_u64 s[2:3], s[2:3], s[8:9]
	s_delay_alu instid0(SALU_CYCLE_1) | instskip(NEXT) | instid1(VALU_DEP_1)
	s_lshl_b64 s[2:3], s[2:3], 3
	v_cvt_i32_f32_e32 v3, v3
	s_delay_alu instid0(VALU_DEP_1) | instskip(SKIP_2) | instid1(VALU_DEP_3)
	v_add_min_i32_e64 v4, s14, -1, v3
	v_floor_f32_e32 v3, v6
	v_floor_f32_e32 v6, v5
	v_ashrrev_i32_e32 v5, 31, v4
	s_delay_alu instid0(VALU_DEP_3) | instskip(NEXT) | instid1(VALU_DEP_3)
	v_cvt_i32_f32_e32 v3, v3
	v_cvt_i32_f32_e32 v7, v6
	s_delay_alu instid0(VALU_DEP_3) | instskip(NEXT) | instid1(VALU_DEP_3)
	v_mad_nc_u64_u32 v[4:5], v2, s0, v[4:5]
	v_add_min_i32_e64 v6, s12, -1, v3
	s_delay_alu instid0(VALU_DEP_3) | instskip(NEXT) | instid1(VALU_DEP_2)
	v_add_min_i32_e64 v3, s10, -1, v7
	v_ashrrev_i32_e32 v7, 31, v6
	s_delay_alu instid0(VALU_DEP_1) | instskip(SKIP_1) | instid1(VALU_DEP_2)
	v_mad_nc_u64_u32 v[6:7], s12, v3, v[6:7]
	v_mad_u32 v5, v8, s0, v5
	v_mad_u32 v7, s13, v3, v7
	s_delay_alu instid0(VALU_DEP_2) | instskip(SKIP_3) | instid1(VALU_DEP_1)
	v_mad_u32 v5, v2, s1, v5
	v_ashrrev_i32_e32 v2, 31, v3
	s_mul_u64 s[0:1], s[0:1], s[8:9]
	s_mov_b64 s[8:9], 0
	v_mad_u32 v7, s12, v2, v7
	s_delay_alu instid0(VALU_DEP_3) | instskip(NEXT) | instid1(VALU_DEP_1)
	v_mad_nc_u64_u32 v[2:3], v6, s14, v[4:5]
	v_mad_u32 v3, v7, s14, v3
	s_delay_alu instid0(VALU_DEP_1)
	v_mad_u32 v3, v6, s15, v3
.LBB5_30:                               ; =>This Inner Loop Header: Depth=1
	s_delay_alu instid0(VALU_DEP_1)
	v_lshl_add_u64 v[4:5], v[2:3], 3, s[4:5]
	s_add_nc_u64 s[8:9], s[8:9], 1
	v_add_nc_u64_e32 v[2:3], s[0:1], v[2:3]
	v_cmp_gt_u64_e64 s10, s[6:7], s[8:9]
	global_load_b64 v[4:5], v[4:5], off
	s_and_b32 vcc_lo, exec_lo, s10
	s_wait_loadcnt 0x0
	global_store_b64 v[0:1], v[4:5], off
	s_wait_xcnt 0x0
	v_add_nc_u64_e32 v[0:1], s[2:3], v[0:1]
	s_cbranch_vccnz .LBB5_30
.LBB5_31:
	s_endpgm
	.section	.rodata,"a",@progbits
	.p2align	6, 0x0
	.amdhsa_kernel _ZN2at6native12_GLOBAL__N_128upsample_nearest3d_out_frameIdXadL_ZNS0_43nearest_neighbor_exact_compute_source_indexEfiiEEEEvPKT_mmmmmmmmPS3_fff
		.amdhsa_group_segment_fixed_size 0
		.amdhsa_private_segment_fixed_size 0
		.amdhsa_kernarg_size 352
		.amdhsa_user_sgpr_count 2
		.amdhsa_user_sgpr_dispatch_ptr 0
		.amdhsa_user_sgpr_queue_ptr 0
		.amdhsa_user_sgpr_kernarg_segment_ptr 1
		.amdhsa_user_sgpr_dispatch_id 0
		.amdhsa_user_sgpr_kernarg_preload_length 0
		.amdhsa_user_sgpr_kernarg_preload_offset 0
		.amdhsa_user_sgpr_private_segment_size 0
		.amdhsa_wavefront_size32 1
		.amdhsa_uses_dynamic_stack 0
		.amdhsa_enable_private_segment 0
		.amdhsa_system_sgpr_workgroup_id_x 1
		.amdhsa_system_sgpr_workgroup_id_y 0
		.amdhsa_system_sgpr_workgroup_id_z 0
		.amdhsa_system_sgpr_workgroup_info 0
		.amdhsa_system_vgpr_workitem_id 0
		.amdhsa_next_free_vgpr 18
		.amdhsa_next_free_sgpr 43
		.amdhsa_named_barrier_count 0
		.amdhsa_reserve_vcc 1
		.amdhsa_float_round_mode_32 0
		.amdhsa_float_round_mode_16_64 0
		.amdhsa_float_denorm_mode_32 3
		.amdhsa_float_denorm_mode_16_64 3
		.amdhsa_fp16_overflow 0
		.amdhsa_memory_ordered 1
		.amdhsa_forward_progress 1
		.amdhsa_inst_pref_size 43
		.amdhsa_round_robin_scheduling 0
		.amdhsa_exception_fp_ieee_invalid_op 0
		.amdhsa_exception_fp_denorm_src 0
		.amdhsa_exception_fp_ieee_div_zero 0
		.amdhsa_exception_fp_ieee_overflow 0
		.amdhsa_exception_fp_ieee_underflow 0
		.amdhsa_exception_fp_ieee_inexact 0
		.amdhsa_exception_int_div_zero 0
	.end_amdhsa_kernel
	.section	.text._ZN2at6native12_GLOBAL__N_128upsample_nearest3d_out_frameIdXadL_ZNS0_43nearest_neighbor_exact_compute_source_indexEfiiEEEEvPKT_mmmmmmmmPS3_fff,"axG",@progbits,_ZN2at6native12_GLOBAL__N_128upsample_nearest3d_out_frameIdXadL_ZNS0_43nearest_neighbor_exact_compute_source_indexEfiiEEEEvPKT_mmmmmmmmPS3_fff,comdat
.Lfunc_end5:
	.size	_ZN2at6native12_GLOBAL__N_128upsample_nearest3d_out_frameIdXadL_ZNS0_43nearest_neighbor_exact_compute_source_indexEfiiEEEEvPKT_mmmmmmmmPS3_fff, .Lfunc_end5-_ZN2at6native12_GLOBAL__N_128upsample_nearest3d_out_frameIdXadL_ZNS0_43nearest_neighbor_exact_compute_source_indexEfiiEEEEvPKT_mmmmmmmmPS3_fff
                                        ; -- End function
	.set _ZN2at6native12_GLOBAL__N_128upsample_nearest3d_out_frameIdXadL_ZNS0_43nearest_neighbor_exact_compute_source_indexEfiiEEEEvPKT_mmmmmmmmPS3_fff.num_vgpr, 18
	.set _ZN2at6native12_GLOBAL__N_128upsample_nearest3d_out_frameIdXadL_ZNS0_43nearest_neighbor_exact_compute_source_indexEfiiEEEEvPKT_mmmmmmmmPS3_fff.num_agpr, 0
	.set _ZN2at6native12_GLOBAL__N_128upsample_nearest3d_out_frameIdXadL_ZNS0_43nearest_neighbor_exact_compute_source_indexEfiiEEEEvPKT_mmmmmmmmPS3_fff.numbered_sgpr, 43
	.set _ZN2at6native12_GLOBAL__N_128upsample_nearest3d_out_frameIdXadL_ZNS0_43nearest_neighbor_exact_compute_source_indexEfiiEEEEvPKT_mmmmmmmmPS3_fff.num_named_barrier, 0
	.set _ZN2at6native12_GLOBAL__N_128upsample_nearest3d_out_frameIdXadL_ZNS0_43nearest_neighbor_exact_compute_source_indexEfiiEEEEvPKT_mmmmmmmmPS3_fff.private_seg_size, 0
	.set _ZN2at6native12_GLOBAL__N_128upsample_nearest3d_out_frameIdXadL_ZNS0_43nearest_neighbor_exact_compute_source_indexEfiiEEEEvPKT_mmmmmmmmPS3_fff.uses_vcc, 1
	.set _ZN2at6native12_GLOBAL__N_128upsample_nearest3d_out_frameIdXadL_ZNS0_43nearest_neighbor_exact_compute_source_indexEfiiEEEEvPKT_mmmmmmmmPS3_fff.uses_flat_scratch, 0
	.set _ZN2at6native12_GLOBAL__N_128upsample_nearest3d_out_frameIdXadL_ZNS0_43nearest_neighbor_exact_compute_source_indexEfiiEEEEvPKT_mmmmmmmmPS3_fff.has_dyn_sized_stack, 0
	.set _ZN2at6native12_GLOBAL__N_128upsample_nearest3d_out_frameIdXadL_ZNS0_43nearest_neighbor_exact_compute_source_indexEfiiEEEEvPKT_mmmmmmmmPS3_fff.has_recursion, 0
	.set _ZN2at6native12_GLOBAL__N_128upsample_nearest3d_out_frameIdXadL_ZNS0_43nearest_neighbor_exact_compute_source_indexEfiiEEEEvPKT_mmmmmmmmPS3_fff.has_indirect_call, 0
	.section	.AMDGPU.csdata,"",@progbits
; Kernel info:
; codeLenInByte = 5416
; TotalNumSgprs: 45
; NumVgprs: 18
; ScratchSize: 0
; MemoryBound: 0
; FloatMode: 240
; IeeeMode: 1
; LDSByteSize: 0 bytes/workgroup (compile time only)
; SGPRBlocks: 0
; VGPRBlocks: 1
; NumSGPRsForWavesPerEU: 45
; NumVGPRsForWavesPerEU: 18
; NamedBarCnt: 0
; Occupancy: 16
; WaveLimiterHint : 0
; COMPUTE_PGM_RSRC2:SCRATCH_EN: 0
; COMPUTE_PGM_RSRC2:USER_SGPR: 2
; COMPUTE_PGM_RSRC2:TRAP_HANDLER: 0
; COMPUTE_PGM_RSRC2:TGID_X_EN: 1
; COMPUTE_PGM_RSRC2:TGID_Y_EN: 0
; COMPUTE_PGM_RSRC2:TGID_Z_EN: 0
; COMPUTE_PGM_RSRC2:TIDIG_COMP_CNT: 0
	.section	.text._ZN2at6native12_GLOBAL__N_128upsample_nearest3d_out_frameIfXadL_ZNS0_43nearest_neighbor_exact_compute_source_indexEfiiEEEEvPKT_mmmmmmmmPS3_fff,"axG",@progbits,_ZN2at6native12_GLOBAL__N_128upsample_nearest3d_out_frameIfXadL_ZNS0_43nearest_neighbor_exact_compute_source_indexEfiiEEEEvPKT_mmmmmmmmPS3_fff,comdat
	.globl	_ZN2at6native12_GLOBAL__N_128upsample_nearest3d_out_frameIfXadL_ZNS0_43nearest_neighbor_exact_compute_source_indexEfiiEEEEvPKT_mmmmmmmmPS3_fff ; -- Begin function _ZN2at6native12_GLOBAL__N_128upsample_nearest3d_out_frameIfXadL_ZNS0_43nearest_neighbor_exact_compute_source_indexEfiiEEEEvPKT_mmmmmmmmPS3_fff
	.p2align	8
	.type	_ZN2at6native12_GLOBAL__N_128upsample_nearest3d_out_frameIfXadL_ZNS0_43nearest_neighbor_exact_compute_source_indexEfiiEEEEvPKT_mmmmmmmmPS3_fff,@function
_ZN2at6native12_GLOBAL__N_128upsample_nearest3d_out_frameIfXadL_ZNS0_43nearest_neighbor_exact_compute_source_indexEfiiEEEEvPKT_mmmmmmmmPS3_fff: ; @_ZN2at6native12_GLOBAL__N_128upsample_nearest3d_out_frameIfXadL_ZNS0_43nearest_neighbor_exact_compute_source_indexEfiiEEEEvPKT_mmmmmmmmPS3_fff
; %bb.0:
	s_clause 0x2
	s_load_b32 s2, s[0:1], 0x6c
	s_load_b512 s[4:19], s[0:1], 0x0
	s_load_b128 s[20:23], s[0:1], 0x40
	s_bfe_u32 s3, ttmp6, 0x4000c
	v_mov_b32_e32 v2, 0
	s_add_co_i32 s3, s3, 1
	s_and_b32 s24, ttmp6, 15
	s_mul_i32 s3, ttmp9, s3
	s_getreg_b32 s25, hwreg(HW_REG_IB_STS2, 6, 4)
	v_mov_b32_e32 v1, v2
	s_add_co_i32 s24, s24, s3
	s_wait_kmcnt 0x0
	s_and_b32 s2, s2, 0xffff
	s_cmp_eq_u32 s25, 0
	s_cselect_b32 s3, ttmp9, s24
	s_cmp_lg_u64 s[6:7], 0
	v_mad_nc_u64_u32 v[0:1], s2, s3, v[0:1]
	s_mul_u64 s[2:3], s[18:19], s[16:17]
	s_delay_alu instid0(SALU_CYCLE_1) | instskip(NEXT) | instid1(SALU_CYCLE_1)
	s_mul_u64 s[24:25], s[2:3], s[8:9]
	s_mul_u64 s[24:25], s[24:25], s[20:21]
	s_delay_alu instid0(VALU_DEP_1) | instid1(SALU_CYCLE_1)
	v_cmp_gt_u64_e32 vcc_lo, s[24:25], v[0:1]
	s_cselect_b32 s24, -1, 0
	s_delay_alu instid0(SALU_CYCLE_1) | instskip(NEXT) | instid1(SALU_CYCLE_1)
	s_and_b32 s24, vcc_lo, s24
	s_and_saveexec_b32 s25, s24
	s_cbranch_execz .LBB6_31
; %bb.1:
	s_mul_u64 s[24:25], s[2:3], s[20:21]
                                        ; implicit-def: $vgpr4_vgpr5
	s_mov_b32 s2, exec_lo
	v_or_b32_e32 v3, s25, v1
	s_delay_alu instid0(VALU_DEP_1)
	v_cmpx_ne_u64_e32 0, v[2:3]
	s_xor_b32 s3, exec_lo, s2
	s_cbranch_execz .LBB6_3
; %bb.2:
	s_ashr_i32 s26, s25, 31
	s_mov_b32 s39, 0
	s_mov_b32 s27, s26
	v_dual_mov_b32 v7, 0 :: v_dual_ashrrev_i32 v2, 31, v1
	s_add_nc_u64 s[28:29], s[24:25], s[26:27]
	s_delay_alu instid0(SALU_CYCLE_1) | instskip(NEXT) | instid1(VALU_DEP_1)
	s_xor_b64 s[28:29], s[28:29], s[26:27]
	v_mov_b32_e32 v3, v2
	s_cvt_f32_u32 s2, s28
	s_cvt_f32_u32 s25, s29
	s_sub_nc_u64 s[34:35], 0, s[28:29]
	s_delay_alu instid0(VALU_DEP_1) | instskip(NEXT) | instid1(SALU_CYCLE_1)
	v_add_nc_u64_e32 v[4:5], v[0:1], v[2:3]
	s_fmamk_f32 s2, s25, 0x4f800000, s2
	v_mov_b32_e32 v9, v7
	s_delay_alu instid0(SALU_CYCLE_2) | instskip(NEXT) | instid1(VALU_DEP_2)
	v_s_rcp_f32 s2, s2
	v_xor_b32_e32 v6, v4, v2
	s_delay_alu instid0(VALU_DEP_3) | instskip(SKIP_1) | instid1(TRANS32_DEP_1)
	v_dual_mov_b32 v15, v7 :: v_dual_bitop2_b32 v8, v5, v2 bitop3:0x14
	v_xor_b32_e32 v2, s26, v2
	s_mul_f32 s2, s2, 0x5f7ffffc
	s_delay_alu instid0(SALU_CYCLE_3) | instskip(NEXT) | instid1(SALU_CYCLE_3)
	s_mul_f32 s25, s2, 0x2f800000
	s_trunc_f32 s25, s25
	s_delay_alu instid0(SALU_CYCLE_3) | instskip(SKIP_1) | instid1(SALU_CYCLE_2)
	s_fmamk_f32 s2, s25, 0xcf800000, s2
	s_cvt_u32_f32 s31, s25
	s_cvt_u32_f32 s30, s2
	s_delay_alu instid0(SALU_CYCLE_3) | instskip(NEXT) | instid1(SALU_CYCLE_1)
	s_mul_u64 s[36:37], s[34:35], s[30:31]
	s_mul_hi_u32 s41, s30, s37
	s_mul_i32 s40, s30, s37
	s_mul_hi_u32 s38, s30, s36
	s_mul_i32 s25, s31, s36
	s_add_nc_u64 s[40:41], s[38:39], s[40:41]
	s_mul_hi_u32 s2, s31, s36
	s_mul_hi_u32 s27, s31, s37
	s_add_co_u32 s25, s40, s25
	s_add_co_ci_u32 s38, s41, s2
	s_mul_i32 s36, s31, s37
	s_add_co_ci_u32 s37, s27, 0
	s_delay_alu instid0(SALU_CYCLE_1) | instskip(NEXT) | instid1(SALU_CYCLE_1)
	s_add_nc_u64 s[36:37], s[38:39], s[36:37]
	s_add_co_u32 s30, s30, s36
	s_cselect_b32 s2, -1, 0
	s_delay_alu instid0(SALU_CYCLE_1) | instskip(SKIP_1) | instid1(SALU_CYCLE_1)
	s_cmp_lg_u32 s2, 0
	s_add_co_ci_u32 s31, s31, s37
	s_mul_u64 s[34:35], s[34:35], s[30:31]
	s_delay_alu instid0(SALU_CYCLE_1)
	s_mul_hi_u32 s37, s30, s35
	s_mul_i32 s36, s30, s35
	s_mul_hi_u32 s38, s30, s34
	s_mul_i32 s25, s31, s34
	s_add_nc_u64 s[36:37], s[38:39], s[36:37]
	s_mul_hi_u32 s2, s31, s34
	s_mul_hi_u32 s27, s31, s35
	s_add_co_u32 s25, s36, s25
	s_add_co_ci_u32 s38, s37, s2
	s_mul_i32 s34, s31, s35
	s_add_co_ci_u32 s35, s27, 0
	s_delay_alu instid0(SALU_CYCLE_1) | instskip(NEXT) | instid1(SALU_CYCLE_1)
	s_add_nc_u64 s[34:35], s[38:39], s[34:35]
	s_add_co_u32 s2, s30, s34
	s_cselect_b32 s25, -1, 0
	v_mul_hi_u32 v14, v6, s2
	s_cmp_lg_u32 s25, 0
	s_add_co_ci_u32 s38, s31, s35
	s_mov_b64 s[30:31], 0xffffffff
	v_mul_u64_e32 v[10:11], s[38:39], v[6:7]
	s_and_b64 s[30:31], s[2:3], s[30:31]
	v_mul_u64_e32 v[12:13], s[38:39], v[8:9]
	v_mul_u64_e32 v[4:5], s[30:31], v[8:9]
	s_delay_alu instid0(VALU_DEP_3) | instskip(NEXT) | instid1(VALU_DEP_1)
	v_add_nc_u64_e32 v[10:11], v[14:15], v[10:11]
	v_add_co_u32 v3, vcc_lo, v10, v4
	s_delay_alu instid0(VALU_DEP_2) | instskip(SKIP_1) | instid1(VALU_DEP_1)
	v_add_co_ci_u32_e32 v14, vcc_lo, v11, v5, vcc_lo
	v_add_co_ci_u32_e32 v13, vcc_lo, 0, v13, vcc_lo
	v_add_nc_u64_e32 v[4:5], v[14:15], v[12:13]
	s_delay_alu instid0(VALU_DEP_1) | instskip(NEXT) | instid1(VALU_DEP_1)
	v_mul_u64_e32 v[10:11], s[28:29], v[4:5]
	v_sub_nc_u32_e32 v3, v8, v11
	s_delay_alu instid0(VALU_DEP_2) | instskip(NEXT) | instid1(VALU_DEP_1)
	v_sub_co_u32 v6, vcc_lo, v6, v10
	v_sub_co_ci_u32_e64 v10, null, v8, v11, vcc_lo
	s_delay_alu instid0(VALU_DEP_3) | instskip(NEXT) | instid1(VALU_DEP_3)
	v_subrev_co_ci_u32_e64 v3, null, s29, v3, vcc_lo
	v_sub_co_u32 v7, s2, v6, s28
	s_delay_alu instid0(VALU_DEP_1) | instskip(NEXT) | instid1(VALU_DEP_2)
	v_subrev_co_ci_u32_e64 v3, null, 0, v3, s2
	v_cmp_le_u32_e32 vcc_lo, s28, v7
	v_cndmask_b32_e64 v7, 0, -1, vcc_lo
	s_delay_alu instid0(VALU_DEP_3)
	v_cmp_le_u32_e32 vcc_lo, s29, v3
	v_cndmask_b32_e64 v8, 0, -1, vcc_lo
	v_cmp_le_u32_e32 vcc_lo, s28, v6
	v_cndmask_b32_e64 v11, 0, -1, vcc_lo
	;; [unrolled: 2-line block ×3, first 2 shown]
	v_cmp_eq_u32_e32 vcc_lo, s29, v3
	v_cndmask_b32_e32 v3, v8, v7, vcc_lo
	v_cmp_eq_u32_e32 vcc_lo, s29, v10
	v_add_nc_u64_e32 v[6:7], 2, v[4:5]
	v_add_nc_u64_e32 v[8:9], 1, v[4:5]
	v_cndmask_b32_e32 v10, v12, v11, vcc_lo
	v_cmp_ne_u32_e32 vcc_lo, 0, v3
	s_delay_alu instid0(VALU_DEP_2) | instskip(NEXT) | instid1(VALU_DEP_4)
	v_cmp_ne_u32_e64 s2, 0, v10
	v_dual_cndmask_b32 v6, v8, v6 :: v_dual_cndmask_b32 v3, v9, v7
	s_delay_alu instid0(VALU_DEP_1) | instskip(NEXT) | instid1(VALU_DEP_1)
	v_dual_cndmask_b32 v4, v4, v6, s2 :: v_dual_cndmask_b32 v5, v5, v3, s2
	v_dual_mov_b32 v3, v2 :: v_dual_bitop2_b32 v4, v4, v2 bitop3:0x14
	s_delay_alu instid0(VALU_DEP_2) | instskip(NEXT) | instid1(VALU_DEP_1)
	v_xor_b32_e32 v5, v5, v2
	v_sub_nc_u64_e32 v[4:5], v[4:5], v[2:3]
.LBB6_3:
	s_and_not1_saveexec_b32 s2, s3
	s_cbranch_execz .LBB6_5
; %bb.4:
	v_cvt_f32_u32_e32 v2, s24
	s_sub_co_i32 s3, 0, s24
	s_delay_alu instid0(VALU_DEP_1) | instskip(SKIP_1) | instid1(TRANS32_DEP_1)
	v_rcp_iflag_f32_e32 v2, v2
	v_nop
	v_mul_f32_e32 v2, 0x4f7ffffe, v2
	s_delay_alu instid0(VALU_DEP_1) | instskip(NEXT) | instid1(VALU_DEP_1)
	v_cvt_u32_f32_e32 v2, v2
	v_mul_lo_u32 v3, s3, v2
	s_delay_alu instid0(VALU_DEP_1) | instskip(NEXT) | instid1(VALU_DEP_1)
	v_mul_hi_u32 v3, v2, v3
	v_add_nc_u32_e32 v2, v2, v3
	s_delay_alu instid0(VALU_DEP_1) | instskip(NEXT) | instid1(VALU_DEP_1)
	v_mul_hi_u32 v2, v0, v2
	v_mul_lo_u32 v3, v2, s24
	s_delay_alu instid0(VALU_DEP_1) | instskip(NEXT) | instid1(VALU_DEP_1)
	v_dual_add_nc_u32 v4, 1, v2 :: v_dual_sub_nc_u32 v3, v0, v3
	v_subrev_nc_u32_e32 v5, s24, v3
	v_cmp_le_u32_e32 vcc_lo, s24, v3
	s_delay_alu instid0(VALU_DEP_2) | instskip(NEXT) | instid1(VALU_DEP_4)
	v_dual_cndmask_b32 v3, v3, v5, vcc_lo :: v_dual_mov_b32 v5, 0
	v_cndmask_b32_e32 v2, v2, v4, vcc_lo
	s_delay_alu instid0(VALU_DEP_2) | instskip(NEXT) | instid1(VALU_DEP_2)
	v_cmp_le_u32_e32 vcc_lo, s24, v3
	v_add_nc_u32_e32 v4, 1, v2
	s_delay_alu instid0(VALU_DEP_1)
	v_cndmask_b32_e32 v4, v2, v4, vcc_lo
.LBB6_5:
	s_or_b32 exec_lo, exec_lo, s2
	s_delay_alu instid0(VALU_DEP_1) | instskip(SKIP_1) | instid1(VALU_DEP_1)
	v_dual_mov_b32 v6, 0 :: v_dual_bitop2_b32 v7, s9, v5 bitop3:0x54
                                        ; implicit-def: $vgpr2_vgpr3
	s_mov_b32 s2, exec_lo
	v_cmpx_ne_u64_e32 0, v[6:7]
	s_xor_b32 s3, exec_lo, s2
	s_cbranch_execz .LBB6_7
; %bb.6:
	s_cvt_f32_u32 s2, s8
	s_cvt_f32_u32 s24, s9
	s_sub_nc_u64 s[26:27], 0, s[8:9]
	s_mov_b32 s31, 0
	v_dual_mov_b32 v2, v4 :: v_dual_mov_b32 v3, v6
	s_fmamk_f32 s2, s24, 0x4f800000, s2
	v_dual_mov_b32 v8, v5 :: v_dual_mov_b32 v9, v6
	v_dual_mov_b32 v13, v6 :: v_dual_mov_b32 v7, v6
	s_delay_alu instid0(SALU_CYCLE_1) | instskip(NEXT) | instid1(TRANS32_DEP_1)
	v_s_rcp_f32 s2, s2
	s_mul_f32 s2, s2, 0x5f7ffffc
	s_delay_alu instid0(SALU_CYCLE_3) | instskip(NEXT) | instid1(SALU_CYCLE_3)
	s_mul_f32 s24, s2, 0x2f800000
	s_trunc_f32 s24, s24
	s_delay_alu instid0(SALU_CYCLE_3) | instskip(SKIP_1) | instid1(SALU_CYCLE_2)
	s_fmamk_f32 s2, s24, 0xcf800000, s2
	s_cvt_u32_f32 s25, s24
	s_cvt_u32_f32 s24, s2
	s_delay_alu instid0(SALU_CYCLE_3) | instskip(NEXT) | instid1(SALU_CYCLE_1)
	s_mul_u64 s[28:29], s[26:27], s[24:25]
	s_mul_hi_u32 s35, s24, s29
	s_mul_i32 s34, s24, s29
	s_mul_hi_u32 s30, s24, s28
	s_mul_i32 s33, s25, s28
	s_add_nc_u64 s[34:35], s[30:31], s[34:35]
	s_mul_hi_u32 s2, s25, s28
	s_mul_hi_u32 s36, s25, s29
	s_mul_i32 s28, s25, s29
	s_add_co_u32 s29, s34, s33
	s_add_co_ci_u32 s30, s35, s2
	s_add_co_ci_u32 s29, s36, 0
	s_delay_alu instid0(SALU_CYCLE_1) | instskip(NEXT) | instid1(SALU_CYCLE_1)
	s_add_nc_u64 s[28:29], s[30:31], s[28:29]
	s_add_co_u32 s24, s24, s28
	s_cselect_b32 s2, -1, 0
	s_delay_alu instid0(SALU_CYCLE_1) | instskip(SKIP_1) | instid1(SALU_CYCLE_1)
	s_cmp_lg_u32 s2, 0
	s_add_co_ci_u32 s25, s25, s29
	s_mul_u64 s[26:27], s[26:27], s[24:25]
	s_delay_alu instid0(SALU_CYCLE_1)
	s_mul_hi_u32 s29, s24, s27
	s_mul_i32 s28, s24, s27
	s_mul_hi_u32 s30, s24, s26
	s_mul_i32 s33, s25, s26
	s_add_nc_u64 s[28:29], s[30:31], s[28:29]
	s_mul_hi_u32 s2, s25, s26
	s_mul_hi_u32 s34, s25, s27
	s_mul_i32 s26, s25, s27
	s_add_co_u32 s27, s28, s33
	s_add_co_ci_u32 s30, s29, s2
	s_add_co_ci_u32 s27, s34, 0
	s_delay_alu instid0(SALU_CYCLE_1) | instskip(NEXT) | instid1(SALU_CYCLE_1)
	s_add_nc_u64 s[26:27], s[30:31], s[26:27]
	s_add_co_u32 s2, s24, s26
	s_cselect_b32 s24, -1, 0
	v_nop
	v_mul_hi_u32 v12, v4, s2
	s_cmp_lg_u32 s24, 0
	s_add_co_ci_u32 s30, s25, s27
	s_mov_b64 s[24:25], 0xffffffff
	v_mul_u64_e32 v[2:3], s[30:31], v[2:3]
	s_and_b64 s[24:25], s[2:3], s[24:25]
	s_delay_alu instid0(SALU_CYCLE_1) | instskip(SKIP_1) | instid1(VALU_DEP_3)
	v_mul_u64_e32 v[10:11], s[24:25], v[8:9]
	v_mul_u64_e32 v[8:9], s[30:31], v[8:9]
	v_add_nc_u64_e32 v[2:3], v[12:13], v[2:3]
	s_delay_alu instid0(VALU_DEP_1) | instskip(NEXT) | instid1(VALU_DEP_2)
	v_add_co_u32 v2, vcc_lo, v2, v10
	v_add_co_ci_u32_e32 v6, vcc_lo, v3, v11, vcc_lo
	s_delay_alu instid0(VALU_DEP_4) | instskip(NEXT) | instid1(VALU_DEP_1)
	v_add_co_ci_u32_e32 v9, vcc_lo, 0, v9, vcc_lo
	v_add_nc_u64_e32 v[2:3], v[6:7], v[8:9]
	s_delay_alu instid0(VALU_DEP_1) | instskip(NEXT) | instid1(VALU_DEP_1)
	v_mul_u64_e32 v[2:3], s[8:9], v[2:3]
	v_sub_nc_u32_e32 v6, v5, v3
	s_delay_alu instid0(VALU_DEP_2) | instskip(NEXT) | instid1(VALU_DEP_1)
	v_sub_co_u32 v2, vcc_lo, v4, v2
	v_sub_co_ci_u32_e64 v3, null, v5, v3, vcc_lo
	s_delay_alu instid0(VALU_DEP_3) | instskip(NEXT) | instid1(VALU_DEP_3)
	v_subrev_co_ci_u32_e64 v4, null, s9, v6, vcc_lo
	v_sub_co_u32 v5, vcc_lo, v2, s8
	v_cmp_le_u32_e64 s2, s8, v2
	s_delay_alu instid0(VALU_DEP_3) | instskip(SKIP_1) | instid1(VALU_DEP_3)
	v_subrev_co_ci_u32_e64 v6, null, 0, v4, vcc_lo
	v_subrev_co_ci_u32_e64 v4, null, s9, v4, vcc_lo
	v_cndmask_b32_e64 v7, 0, -1, s2
	v_cmp_le_u32_e64 s2, s8, v5
	v_cmp_le_u32_e32 vcc_lo, s9, v3
	s_delay_alu instid0(VALU_DEP_2) | instskip(SKIP_3) | instid1(VALU_DEP_3)
	v_cndmask_b32_e64 v8, 0, -1, s2
	v_cmp_le_u32_e64 s2, s9, v6
	v_cndmask_b32_e64 v10, 0, -1, vcc_lo
	v_cmp_eq_u32_e32 vcc_lo, s9, v6
	v_cndmask_b32_e64 v9, 0, -1, s2
	s_delay_alu instid0(VALU_DEP_1) | instskip(SKIP_1) | instid1(VALU_DEP_1)
	v_cndmask_b32_e32 v6, v9, v8, vcc_lo
	v_sub_co_u32 v8, vcc_lo, v5, s8
	v_subrev_co_ci_u32_e64 v4, null, 0, v4, vcc_lo
	v_cmp_eq_u32_e32 vcc_lo, s9, v3
	v_cndmask_b32_e32 v3, v10, v7, vcc_lo
	v_cmp_ne_u32_e32 vcc_lo, 0, v6
	v_cndmask_b32_e32 v4, v5, v8, vcc_lo
	s_delay_alu instid0(VALU_DEP_3) | instskip(NEXT) | instid1(VALU_DEP_2)
	v_cmp_ne_u32_e32 vcc_lo, 0, v3
	v_cndmask_b32_e32 v2, v2, v4, vcc_lo
                                        ; implicit-def: $vgpr4_vgpr5
.LBB6_7:
	s_and_not1_saveexec_b32 s2, s3
	s_cbranch_execz .LBB6_9
; %bb.8:
	v_cvt_f32_u32_e32 v2, s8
	s_sub_co_i32 s3, 0, s8
	s_delay_alu instid0(VALU_DEP_1) | instskip(SKIP_1) | instid1(TRANS32_DEP_1)
	v_rcp_iflag_f32_e32 v2, v2
	v_nop
	v_mul_f32_e32 v2, 0x4f7ffffe, v2
	s_delay_alu instid0(VALU_DEP_1) | instskip(NEXT) | instid1(VALU_DEP_1)
	v_cvt_u32_f32_e32 v2, v2
	v_mul_lo_u32 v3, s3, v2
	s_delay_alu instid0(VALU_DEP_1) | instskip(NEXT) | instid1(VALU_DEP_1)
	v_mul_hi_u32 v3, v2, v3
	v_add_nc_u32_e32 v2, v2, v3
	s_delay_alu instid0(VALU_DEP_1) | instskip(NEXT) | instid1(VALU_DEP_1)
	v_mul_hi_u32 v2, v4, v2
	v_mul_lo_u32 v2, v2, s8
	s_delay_alu instid0(VALU_DEP_1) | instskip(NEXT) | instid1(VALU_DEP_1)
	v_sub_nc_u32_e32 v2, v4, v2
	v_subrev_nc_u32_e32 v3, s8, v2
	v_cmp_le_u32_e32 vcc_lo, s8, v2
	s_delay_alu instid0(VALU_DEP_2) | instskip(NEXT) | instid1(VALU_DEP_1)
	v_cndmask_b32_e32 v2, v2, v3, vcc_lo
	v_subrev_nc_u32_e32 v3, s8, v2
	v_cmp_le_u32_e32 vcc_lo, s8, v2
	s_delay_alu instid0(VALU_DEP_2)
	v_cndmask_b32_e32 v2, v2, v3, vcc_lo
.LBB6_9:
	s_or_b32 exec_lo, exec_lo, s2
	v_dual_mov_b32 v6, 0 :: v_dual_bitop2_b32 v7, s21, v1 bitop3:0x54
	s_cvt_f32_u32 s29, s20
	s_cvt_f32_u32 s30, s21
	s_sub_nc_u64 s[26:27], 0, s[20:21]
                                        ; implicit-def: $vgpr4_vgpr5
	s_mov_b32 s2, exec_lo
	v_cmpx_ne_u64_e32 0, v[6:7]
	s_xor_b32 s3, exec_lo, s2
	s_cbranch_execz .LBB6_11
; %bb.10:
	s_fmamk_f32 s2, s30, 0x4f800000, s29
	s_mov_b32 s37, 0
	v_dual_mov_b32 v4, v0 :: v_dual_mov_b32 v5, v6
	s_delay_alu instid0(SALU_CYCLE_1) | instskip(SKIP_2) | instid1(TRANS32_DEP_1)
	v_s_rcp_f32 s2, s2
	v_dual_mov_b32 v8, v1 :: v_dual_mov_b32 v9, v6
	v_dual_mov_b32 v13, v6 :: v_dual_mov_b32 v7, v6
	s_mul_f32 s2, s2, 0x5f7ffffc
	s_delay_alu instid0(SALU_CYCLE_3) | instskip(NEXT) | instid1(SALU_CYCLE_3)
	s_mul_f32 s24, s2, 0x2f800000
	s_trunc_f32 s24, s24
	s_delay_alu instid0(SALU_CYCLE_3) | instskip(SKIP_1) | instid1(SALU_CYCLE_2)
	s_fmamk_f32 s2, s24, 0xcf800000, s2
	s_cvt_u32_f32 s25, s24
	s_cvt_u32_f32 s24, s2
	s_delay_alu instid0(SALU_CYCLE_3) | instskip(NEXT) | instid1(SALU_CYCLE_1)
	s_mul_u64 s[34:35], s[26:27], s[24:25]
	s_mul_hi_u32 s39, s24, s35
	s_mul_i32 s38, s24, s35
	s_mul_hi_u32 s36, s24, s34
	s_mul_i32 s28, s25, s34
	s_add_nc_u64 s[38:39], s[36:37], s[38:39]
	s_mul_hi_u32 s2, s25, s34
	s_mul_hi_u32 s31, s25, s35
	s_add_co_u32 s28, s38, s28
	s_add_co_ci_u32 s36, s39, s2
	s_mul_i32 s34, s25, s35
	s_add_co_ci_u32 s35, s31, 0
	s_delay_alu instid0(SALU_CYCLE_1) | instskip(NEXT) | instid1(SALU_CYCLE_1)
	s_add_nc_u64 s[34:35], s[36:37], s[34:35]
	s_add_co_u32 s24, s24, s34
	s_cselect_b32 s2, -1, 0
	s_delay_alu instid0(SALU_CYCLE_1) | instskip(SKIP_1) | instid1(SALU_CYCLE_1)
	s_cmp_lg_u32 s2, 0
	s_add_co_ci_u32 s25, s25, s35
	s_mul_u64 s[34:35], s[26:27], s[24:25]
	s_delay_alu instid0(SALU_CYCLE_1)
	s_mul_hi_u32 s39, s24, s35
	s_mul_i32 s38, s24, s35
	s_mul_hi_u32 s36, s24, s34
	s_mul_i32 s28, s25, s34
	s_add_nc_u64 s[38:39], s[36:37], s[38:39]
	s_mul_hi_u32 s2, s25, s34
	s_mul_hi_u32 s31, s25, s35
	s_add_co_u32 s28, s38, s28
	s_add_co_ci_u32 s36, s39, s2
	s_mul_i32 s34, s25, s35
	s_add_co_ci_u32 s35, s31, 0
	s_delay_alu instid0(SALU_CYCLE_1) | instskip(NEXT) | instid1(SALU_CYCLE_1)
	s_add_nc_u64 s[34:35], s[36:37], s[34:35]
	s_add_co_u32 s2, s24, s34
	s_cselect_b32 s24, -1, 0
	v_mul_hi_u32 v12, v0, s2
	s_cmp_lg_u32 s24, 0
	s_add_co_ci_u32 s36, s25, s35
	s_mov_b64 s[24:25], 0xffffffff
	v_mul_u64_e32 v[4:5], s[36:37], v[4:5]
	s_and_b64 s[24:25], s[2:3], s[24:25]
	s_delay_alu instid0(SALU_CYCLE_1) | instskip(SKIP_1) | instid1(VALU_DEP_3)
	v_mul_u64_e32 v[10:11], s[24:25], v[8:9]
	v_mul_u64_e32 v[8:9], s[36:37], v[8:9]
	v_add_nc_u64_e32 v[4:5], v[12:13], v[4:5]
	s_delay_alu instid0(VALU_DEP_1) | instskip(NEXT) | instid1(VALU_DEP_2)
	v_add_co_u32 v3, vcc_lo, v4, v10
	v_add_co_ci_u32_e32 v6, vcc_lo, v5, v11, vcc_lo
	s_delay_alu instid0(VALU_DEP_4) | instskip(NEXT) | instid1(VALU_DEP_1)
	v_add_co_ci_u32_e32 v9, vcc_lo, 0, v9, vcc_lo
	v_add_nc_u64_e32 v[4:5], v[6:7], v[8:9]
	s_delay_alu instid0(VALU_DEP_1) | instskip(SKIP_1) | instid1(VALU_DEP_2)
	v_mul_u64_e32 v[6:7], s[20:21], v[4:5]
	v_add_nc_u64_e32 v[8:9], 2, v[4:5]
	v_sub_nc_u32_e32 v3, v1, v7
	s_delay_alu instid0(VALU_DEP_3) | instskip(NEXT) | instid1(VALU_DEP_1)
	v_sub_co_u32 v6, vcc_lo, v0, v6
	v_sub_co_ci_u32_e64 v12, null, v1, v7, vcc_lo
	s_delay_alu instid0(VALU_DEP_3) | instskip(NEXT) | instid1(VALU_DEP_3)
	v_subrev_co_ci_u32_e64 v3, null, s21, v3, vcc_lo
	v_sub_co_u32 v10, s2, v6, s20
	v_cmp_le_u32_e32 vcc_lo, s20, v6
	s_delay_alu instid0(VALU_DEP_3) | instskip(NEXT) | instid1(VALU_DEP_3)
	v_subrev_co_ci_u32_e64 v3, null, 0, v3, s2
	v_cmp_le_u32_e64 s2, s20, v10
	v_add_nc_u64_e32 v[6:7], 1, v[4:5]
	v_cndmask_b32_e64 v13, 0, -1, vcc_lo
	s_delay_alu instid0(VALU_DEP_4) | instskip(NEXT) | instid1(VALU_DEP_4)
	v_cmp_eq_u32_e32 vcc_lo, s21, v3
	v_cndmask_b32_e64 v10, 0, -1, s2
	v_cmp_le_u32_e64 s2, s21, v3
	s_delay_alu instid0(VALU_DEP_1) | instskip(SKIP_1) | instid1(VALU_DEP_2)
	v_cndmask_b32_e64 v11, 0, -1, s2
	v_cmp_eq_u32_e64 s2, s21, v12
	v_cndmask_b32_e32 v3, v11, v10, vcc_lo
	v_cmp_le_u32_e32 vcc_lo, s21, v12
	v_cndmask_b32_e64 v10, 0, -1, vcc_lo
	s_delay_alu instid0(VALU_DEP_3) | instskip(SKIP_1) | instid1(VALU_DEP_3)
	v_cmp_ne_u32_e32 vcc_lo, 0, v3
	v_cndmask_b32_e32 v7, v7, v9, vcc_lo
	v_cndmask_b32_e64 v3, v10, v13, s2
	v_cndmask_b32_e32 v6, v6, v8, vcc_lo
	s_delay_alu instid0(VALU_DEP_2) | instskip(NEXT) | instid1(VALU_DEP_2)
	v_cmp_ne_u32_e32 vcc_lo, 0, v3
	v_dual_cndmask_b32 v5, v5, v7 :: v_dual_cndmask_b32 v4, v4, v6
.LBB6_11:
	s_or_saveexec_b32 s2, s3
	v_cvt_f32_u32_e32 v12, s20
	s_xor_b32 exec_lo, exec_lo, s2
	s_cbranch_execz .LBB6_13
; %bb.12:
	s_delay_alu instid0(VALU_DEP_1) | instskip(SKIP_2) | instid1(TRANS32_DEP_1)
	v_rcp_iflag_f32_e32 v3, v12
	s_sub_co_i32 s3, 0, s20
	v_nop
	v_mul_f32_e32 v3, 0x4f7ffffe, v3
	s_delay_alu instid0(VALU_DEP_1) | instskip(NEXT) | instid1(VALU_DEP_1)
	v_cvt_u32_f32_e32 v3, v3
	v_mul_lo_u32 v4, s3, v3
	s_delay_alu instid0(VALU_DEP_1) | instskip(NEXT) | instid1(VALU_DEP_1)
	v_mul_hi_u32 v4, v3, v4
	v_add_nc_u32_e32 v3, v3, v4
	s_delay_alu instid0(VALU_DEP_1) | instskip(NEXT) | instid1(VALU_DEP_1)
	v_mul_hi_u32 v3, v0, v3
	v_mul_lo_u32 v4, v3, s20
	s_delay_alu instid0(VALU_DEP_1) | instskip(NEXT) | instid1(VALU_DEP_1)
	v_dual_add_nc_u32 v5, 1, v3 :: v_dual_sub_nc_u32 v4, v0, v4
	v_subrev_nc_u32_e32 v6, s20, v4
	v_cmp_le_u32_e32 vcc_lo, s20, v4
	s_delay_alu instid0(VALU_DEP_2) | instskip(NEXT) | instid1(VALU_DEP_1)
	v_dual_cndmask_b32 v4, v4, v6 :: v_dual_cndmask_b32 v3, v3, v5
	v_cmp_le_u32_e32 vcc_lo, s20, v4
	s_delay_alu instid0(VALU_DEP_2) | instskip(NEXT) | instid1(VALU_DEP_1)
	v_add_nc_u32_e32 v5, 1, v3
	v_dual_cndmask_b32 v4, v3, v5 :: v_dual_mov_b32 v5, 0
.LBB6_13:
	s_or_b32 exec_lo, exec_lo, s2
	v_dual_mov_b32 v8, 0 :: v_dual_bitop2_b32 v9, s19, v1 bitop3:0x54
	s_cvt_f32_u32 s3, s18
	s_cvt_f32_u32 s28, s19
	s_sub_nc_u64 s[24:25], 0, s[18:19]
                                        ; implicit-def: $vgpr6_vgpr7
	s_mov_b32 s2, exec_lo
	v_cmpx_ne_u64_e32 0, v[8:9]
	s_xor_b32 s31, exec_lo, s2
	s_cbranch_execz .LBB6_15
; %bb.14:
	s_fmamk_f32 s2, s28, 0x4f800000, s3
	s_mov_b32 s39, 0
	v_dual_mov_b32 v6, v0 :: v_dual_mov_b32 v7, v8
	s_delay_alu instid0(SALU_CYCLE_1) | instskip(SKIP_2) | instid1(TRANS32_DEP_1)
	v_s_rcp_f32 s2, s2
	v_dual_mov_b32 v10, v1 :: v_dual_mov_b32 v11, v8
	v_dual_mov_b32 v17, v8 :: v_dual_mov_b32 v9, v8
	s_mul_f32 s2, s2, 0x5f7ffffc
	s_delay_alu instid0(SALU_CYCLE_3) | instskip(NEXT) | instid1(SALU_CYCLE_3)
	s_mul_f32 s33, s2, 0x2f800000
	s_trunc_f32 s33, s33
	s_delay_alu instid0(SALU_CYCLE_3) | instskip(SKIP_1) | instid1(SALU_CYCLE_2)
	s_fmamk_f32 s2, s33, 0xcf800000, s2
	s_cvt_u32_f32 s35, s33
	s_cvt_u32_f32 s34, s2
	s_delay_alu instid0(SALU_CYCLE_3) | instskip(NEXT) | instid1(SALU_CYCLE_1)
	s_mul_u64 s[36:37], s[24:25], s[34:35]
	s_mul_hi_u32 s41, s34, s37
	s_mul_i32 s40, s34, s37
	s_mul_hi_u32 s38, s34, s36
	s_mul_i32 s33, s35, s36
	s_add_nc_u64 s[40:41], s[38:39], s[40:41]
	s_mul_hi_u32 s2, s35, s36
	s_mul_hi_u32 s42, s35, s37
	s_add_co_u32 s33, s40, s33
	s_add_co_ci_u32 s38, s41, s2
	s_mul_i32 s36, s35, s37
	s_add_co_ci_u32 s37, s42, 0
	s_delay_alu instid0(SALU_CYCLE_1) | instskip(NEXT) | instid1(SALU_CYCLE_1)
	s_add_nc_u64 s[36:37], s[38:39], s[36:37]
	s_add_co_u32 s34, s34, s36
	s_cselect_b32 s2, -1, 0
	s_delay_alu instid0(SALU_CYCLE_1) | instskip(SKIP_1) | instid1(SALU_CYCLE_1)
	s_cmp_lg_u32 s2, 0
	s_add_co_ci_u32 s35, s35, s37
	s_mul_u64 s[36:37], s[24:25], s[34:35]
	s_delay_alu instid0(SALU_CYCLE_1)
	s_mul_hi_u32 s41, s34, s37
	s_mul_i32 s40, s34, s37
	s_mul_hi_u32 s38, s34, s36
	s_mul_i32 s33, s35, s36
	s_add_nc_u64 s[40:41], s[38:39], s[40:41]
	s_mul_hi_u32 s2, s35, s36
	s_mul_hi_u32 s42, s35, s37
	s_add_co_u32 s33, s40, s33
	s_add_co_ci_u32 s38, s41, s2
	s_mul_i32 s36, s35, s37
	s_add_co_ci_u32 s37, s42, 0
	s_delay_alu instid0(SALU_CYCLE_1) | instskip(NEXT) | instid1(SALU_CYCLE_1)
	s_add_nc_u64 s[36:37], s[38:39], s[36:37]
	s_add_co_u32 s2, s34, s36
	s_cselect_b32 s33, -1, 0
	v_mul_hi_u32 v16, v0, s2
	s_cmp_lg_u32 s33, 0
	s_add_co_ci_u32 s38, s35, s37
	s_mov_b64 s[34:35], 0xffffffff
	v_mul_u64_e32 v[6:7], s[38:39], v[6:7]
	s_and_b64 s[34:35], s[2:3], s[34:35]
	s_delay_alu instid0(SALU_CYCLE_1) | instskip(SKIP_1) | instid1(VALU_DEP_3)
	v_mul_u64_e32 v[14:15], s[34:35], v[10:11]
	v_mul_u64_e32 v[10:11], s[38:39], v[10:11]
	v_add_nc_u64_e32 v[6:7], v[16:17], v[6:7]
	s_delay_alu instid0(VALU_DEP_1) | instskip(NEXT) | instid1(VALU_DEP_2)
	v_add_co_u32 v3, vcc_lo, v6, v14
	v_add_co_ci_u32_e32 v8, vcc_lo, v7, v15, vcc_lo
	s_delay_alu instid0(VALU_DEP_4) | instskip(NEXT) | instid1(VALU_DEP_1)
	v_add_co_ci_u32_e32 v11, vcc_lo, 0, v11, vcc_lo
	v_add_nc_u64_e32 v[6:7], v[8:9], v[10:11]
	s_delay_alu instid0(VALU_DEP_1) | instskip(SKIP_1) | instid1(VALU_DEP_2)
	v_mul_u64_e32 v[8:9], s[18:19], v[6:7]
	v_add_nc_u64_e32 v[10:11], 2, v[6:7]
	v_sub_nc_u32_e32 v3, v1, v9
	s_delay_alu instid0(VALU_DEP_3) | instskip(NEXT) | instid1(VALU_DEP_1)
	v_sub_co_u32 v8, vcc_lo, v0, v8
	v_sub_co_ci_u32_e64 v15, null, v1, v9, vcc_lo
	s_delay_alu instid0(VALU_DEP_3) | instskip(NEXT) | instid1(VALU_DEP_3)
	v_subrev_co_ci_u32_e64 v3, null, s19, v3, vcc_lo
	v_sub_co_u32 v13, s2, v8, s18
	v_cmp_le_u32_e32 vcc_lo, s18, v8
	s_delay_alu instid0(VALU_DEP_3) | instskip(NEXT) | instid1(VALU_DEP_3)
	v_subrev_co_ci_u32_e64 v3, null, 0, v3, s2
	v_cmp_le_u32_e64 s2, s18, v13
	v_add_nc_u64_e32 v[8:9], 1, v[6:7]
	v_cndmask_b32_e64 v16, 0, -1, vcc_lo
	s_delay_alu instid0(VALU_DEP_4) | instskip(NEXT) | instid1(VALU_DEP_4)
	v_cmp_eq_u32_e32 vcc_lo, s19, v3
	v_cndmask_b32_e64 v13, 0, -1, s2
	v_cmp_le_u32_e64 s2, s19, v3
	s_delay_alu instid0(VALU_DEP_1) | instskip(SKIP_1) | instid1(VALU_DEP_2)
	v_cndmask_b32_e64 v14, 0, -1, s2
	v_cmp_eq_u32_e64 s2, s19, v15
	v_cndmask_b32_e32 v3, v14, v13, vcc_lo
	v_cmp_le_u32_e32 vcc_lo, s19, v15
	v_cndmask_b32_e64 v13, 0, -1, vcc_lo
	s_delay_alu instid0(VALU_DEP_3) | instskip(SKIP_1) | instid1(VALU_DEP_3)
	v_cmp_ne_u32_e32 vcc_lo, 0, v3
	v_cndmask_b32_e32 v9, v9, v11, vcc_lo
	v_dual_cndmask_b32 v3, v13, v16, s2 :: v_dual_cndmask_b32 v8, v8, v10, vcc_lo
	s_delay_alu instid0(VALU_DEP_1) | instskip(NEXT) | instid1(VALU_DEP_2)
	v_cmp_ne_u32_e32 vcc_lo, 0, v3
	v_dual_cndmask_b32 v7, v7, v9 :: v_dual_cndmask_b32 v6, v6, v8
.LBB6_15:
	s_or_saveexec_b32 s2, s31
	v_cvt_f32_u32_e32 v3, s18
	s_xor_b32 exec_lo, exec_lo, s2
	s_cbranch_execz .LBB6_17
; %bb.16:
	s_delay_alu instid0(VALU_DEP_1) | instskip(SKIP_2) | instid1(TRANS32_DEP_1)
	v_rcp_iflag_f32_e32 v6, v3
	s_sub_co_i32 s31, 0, s18
	v_nop
	v_mul_f32_e32 v6, 0x4f7ffffe, v6
	s_delay_alu instid0(VALU_DEP_1) | instskip(NEXT) | instid1(VALU_DEP_1)
	v_cvt_u32_f32_e32 v6, v6
	v_mul_lo_u32 v7, s31, v6
	s_delay_alu instid0(VALU_DEP_1) | instskip(NEXT) | instid1(VALU_DEP_1)
	v_mul_hi_u32 v7, v6, v7
	v_add_nc_u32_e32 v6, v6, v7
	s_delay_alu instid0(VALU_DEP_1) | instskip(NEXT) | instid1(VALU_DEP_1)
	v_mul_hi_u32 v6, v0, v6
	v_mul_lo_u32 v7, v6, s18
	s_delay_alu instid0(VALU_DEP_1) | instskip(NEXT) | instid1(VALU_DEP_1)
	v_dual_add_nc_u32 v8, 1, v6 :: v_dual_sub_nc_u32 v7, v0, v7
	v_subrev_nc_u32_e32 v9, s18, v7
	v_cmp_le_u32_e32 vcc_lo, s18, v7
	s_delay_alu instid0(VALU_DEP_2) | instskip(NEXT) | instid1(VALU_DEP_1)
	v_dual_cndmask_b32 v7, v7, v9 :: v_dual_cndmask_b32 v6, v6, v8
	v_cmp_le_u32_e32 vcc_lo, s18, v7
	s_delay_alu instid0(VALU_DEP_2) | instskip(NEXT) | instid1(VALU_DEP_1)
	v_dual_mov_b32 v7, 0 :: v_dual_add_nc_u32 v8, 1, v6
	v_cndmask_b32_e32 v6, v6, v8, vcc_lo
.LBB6_17:
	s_or_b32 exec_lo, exec_lo, s2
	s_delay_alu instid0(VALU_DEP_2) | instskip(SKIP_1) | instid1(VALU_DEP_1)
	v_dual_mov_b32 v10, 0 :: v_dual_bitop2_b32 v11, s21, v7 bitop3:0x54
                                        ; implicit-def: $vgpr8_vgpr9
	s_mov_b32 s2, exec_lo
	v_cmpx_ne_u64_e32 0, v[10:11]
	s_xor_b32 s31, exec_lo, s2
	s_cbranch_execz .LBB6_19
; %bb.18:
	s_fmamk_f32 s2, s30, 0x4f800000, s29
	s_mov_b32 s39, 0
	v_dual_mov_b32 v8, v6 :: v_dual_mov_b32 v9, v10
	s_delay_alu instid0(SALU_CYCLE_1) | instskip(SKIP_2) | instid1(TRANS32_DEP_1)
	v_s_rcp_f32 s2, s2
	v_dual_mov_b32 v12, v7 :: v_dual_mov_b32 v13, v10
	v_dual_mov_b32 v17, v10 :: v_dual_mov_b32 v11, v10
	s_mul_f32 s2, s2, 0x5f7ffffc
	s_delay_alu instid0(SALU_CYCLE_3) | instskip(NEXT) | instid1(SALU_CYCLE_3)
	s_mul_f32 s29, s2, 0x2f800000
	s_trunc_f32 s29, s29
	s_delay_alu instid0(SALU_CYCLE_3) | instskip(SKIP_1) | instid1(SALU_CYCLE_2)
	s_fmamk_f32 s2, s29, 0xcf800000, s2
	s_cvt_u32_f32 s35, s29
	s_cvt_u32_f32 s34, s2
	s_delay_alu instid0(SALU_CYCLE_3) | instskip(NEXT) | instid1(SALU_CYCLE_1)
	s_mul_u64 s[36:37], s[26:27], s[34:35]
	s_mul_hi_u32 s41, s34, s37
	s_mul_i32 s40, s34, s37
	s_mul_hi_u32 s38, s34, s36
	s_mul_i32 s29, s35, s36
	s_add_nc_u64 s[40:41], s[38:39], s[40:41]
	s_mul_hi_u32 s2, s35, s36
	s_mul_hi_u32 s30, s35, s37
	s_add_co_u32 s29, s40, s29
	s_add_co_ci_u32 s38, s41, s2
	s_mul_i32 s36, s35, s37
	s_add_co_ci_u32 s37, s30, 0
	s_delay_alu instid0(SALU_CYCLE_1) | instskip(NEXT) | instid1(SALU_CYCLE_1)
	s_add_nc_u64 s[36:37], s[38:39], s[36:37]
	s_add_co_u32 s34, s34, s36
	s_cselect_b32 s2, -1, 0
	s_delay_alu instid0(SALU_CYCLE_1) | instskip(SKIP_1) | instid1(SALU_CYCLE_1)
	s_cmp_lg_u32 s2, 0
	s_add_co_ci_u32 s35, s35, s37
	s_mul_u64 s[26:27], s[26:27], s[34:35]
	s_delay_alu instid0(SALU_CYCLE_1)
	s_mul_hi_u32 s37, s34, s27
	s_mul_i32 s36, s34, s27
	s_mul_hi_u32 s38, s34, s26
	s_mul_i32 s29, s35, s26
	s_add_nc_u64 s[36:37], s[38:39], s[36:37]
	s_mul_hi_u32 s2, s35, s26
	s_mul_hi_u32 s30, s35, s27
	s_mul_i32 s26, s35, s27
	s_add_co_u32 s27, s36, s29
	s_add_co_ci_u32 s38, s37, s2
	s_add_co_ci_u32 s27, s30, 0
	s_delay_alu instid0(SALU_CYCLE_1) | instskip(NEXT) | instid1(SALU_CYCLE_1)
	s_add_nc_u64 s[26:27], s[38:39], s[26:27]
	s_add_co_u32 s2, s34, s26
	s_cselect_b32 s26, -1, 0
	v_mul_hi_u32 v16, v6, s2
	s_cmp_lg_u32 s26, 0
	s_add_co_ci_u32 s38, s35, s27
	s_mov_b64 s[26:27], 0xffffffff
	v_mul_u64_e32 v[8:9], s[38:39], v[8:9]
	s_and_b64 s[26:27], s[2:3], s[26:27]
	s_delay_alu instid0(SALU_CYCLE_1) | instskip(SKIP_1) | instid1(VALU_DEP_3)
	v_mul_u64_e32 v[14:15], s[26:27], v[12:13]
	v_mul_u64_e32 v[12:13], s[38:39], v[12:13]
	v_add_nc_u64_e32 v[8:9], v[16:17], v[8:9]
	s_delay_alu instid0(VALU_DEP_1) | instskip(NEXT) | instid1(VALU_DEP_2)
	v_add_co_u32 v8, vcc_lo, v8, v14
	v_add_co_ci_u32_e32 v10, vcc_lo, v9, v15, vcc_lo
	s_delay_alu instid0(VALU_DEP_4) | instskip(NEXT) | instid1(VALU_DEP_1)
	v_add_co_ci_u32_e32 v13, vcc_lo, 0, v13, vcc_lo
	v_add_nc_u64_e32 v[8:9], v[10:11], v[12:13]
	s_delay_alu instid0(VALU_DEP_1) | instskip(NEXT) | instid1(VALU_DEP_1)
	v_mul_u64_e32 v[10:11], s[20:21], v[8:9]
	v_sub_nc_u32_e32 v12, v7, v11
	s_delay_alu instid0(VALU_DEP_2) | instskip(NEXT) | instid1(VALU_DEP_1)
	v_sub_co_u32 v6, vcc_lo, v6, v10
	v_sub_co_ci_u32_e64 v11, null, v7, v11, vcc_lo
	s_delay_alu instid0(VALU_DEP_3) | instskip(NEXT) | instid1(VALU_DEP_3)
	v_subrev_co_ci_u32_e64 v10, null, s21, v12, vcc_lo
	v_sub_co_u32 v14, s2, v6, s20
	v_cmp_le_u32_e32 vcc_lo, s20, v6
	s_delay_alu instid0(VALU_DEP_3) | instskip(NEXT) | instid1(VALU_DEP_3)
	v_subrev_co_ci_u32_e64 v10, null, 0, v10, s2
	v_cmp_le_u32_e64 s2, s20, v14
	v_add_nc_u64_e32 v[12:13], 2, v[8:9]
	v_cndmask_b32_e64 v16, 0, -1, vcc_lo
	s_delay_alu instid0(VALU_DEP_4) | instskip(SKIP_3) | instid1(VALU_DEP_1)
	v_cmp_eq_u32_e32 vcc_lo, s21, v10
	v_add_nc_u64_e32 v[6:7], 1, v[8:9]
	v_cndmask_b32_e64 v14, 0, -1, s2
	v_cmp_le_u32_e64 s2, s21, v10
	v_cndmask_b32_e64 v15, 0, -1, s2
	v_cmp_eq_u32_e64 s2, s21, v11
	s_delay_alu instid0(VALU_DEP_2) | instskip(SKIP_2) | instid1(VALU_DEP_3)
	v_cndmask_b32_e32 v10, v15, v14, vcc_lo
	v_cmp_le_u32_e32 vcc_lo, s21, v11
	v_cndmask_b32_e64 v14, 0, -1, vcc_lo
	v_cmp_ne_u32_e32 vcc_lo, 0, v10
	s_delay_alu instid0(VALU_DEP_2) | instskip(SKIP_1) | instid1(VALU_DEP_2)
	v_cndmask_b32_e64 v10, v14, v16, s2
	v_dual_cndmask_b32 v6, v6, v12 :: v_dual_cndmask_b32 v7, v7, v13
                                        ; implicit-def: $vgpr12
	v_cmp_ne_u32_e32 vcc_lo, 0, v10
	s_delay_alu instid0(VALU_DEP_2)
	v_dual_cndmask_b32 v8, v8, v6 :: v_dual_cndmask_b32 v9, v9, v7
                                        ; implicit-def: $vgpr6_vgpr7
.LBB6_19:
	s_and_not1_saveexec_b32 s2, s31
	s_cbranch_execz .LBB6_21
; %bb.20:
	v_rcp_iflag_f32_e32 v7, v12
	s_sub_co_i32 s26, 0, s20
	v_nop
	s_delay_alu instid0(TRANS32_DEP_1) | instskip(NEXT) | instid1(VALU_DEP_1)
	v_mul_f32_e32 v7, 0x4f7ffffe, v7
	v_cvt_u32_f32_e32 v7, v7
	s_delay_alu instid0(VALU_DEP_1) | instskip(NEXT) | instid1(VALU_DEP_1)
	v_mul_lo_u32 v8, s26, v7
	v_mul_hi_u32 v8, v7, v8
	s_delay_alu instid0(VALU_DEP_1) | instskip(NEXT) | instid1(VALU_DEP_1)
	v_add_nc_u32_e32 v7, v7, v8
	v_mul_hi_u32 v7, v6, v7
	s_delay_alu instid0(VALU_DEP_1) | instskip(NEXT) | instid1(VALU_DEP_1)
	v_mul_lo_u32 v8, v7, s20
	v_dual_sub_nc_u32 v6, v6, v8 :: v_dual_add_nc_u32 v8, 1, v7
	s_delay_alu instid0(VALU_DEP_1) | instskip(SKIP_1) | instid1(VALU_DEP_2)
	v_subrev_nc_u32_e32 v9, s20, v6
	v_cmp_le_u32_e32 vcc_lo, s20, v6
	v_dual_cndmask_b32 v6, v6, v9 :: v_dual_mov_b32 v9, 0
	s_delay_alu instid0(VALU_DEP_4) | instskip(NEXT) | instid1(VALU_DEP_2)
	v_cndmask_b32_e32 v7, v7, v8, vcc_lo
	v_cmp_le_u32_e32 vcc_lo, s20, v6
	s_delay_alu instid0(VALU_DEP_2) | instskip(NEXT) | instid1(VALU_DEP_1)
	v_add_nc_u32_e32 v8, 1, v7
	v_cndmask_b32_e32 v8, v7, v8, vcc_lo
.LBB6_21:
	s_or_b32 exec_lo, exec_lo, s2
	s_delay_alu instid0(VALU_DEP_1) | instskip(SKIP_1) | instid1(VALU_DEP_1)
	v_dual_mov_b32 v10, 0 :: v_dual_bitop2_b32 v11, s17, v9 bitop3:0x54
                                        ; implicit-def: $vgpr6_vgpr7
	s_mov_b32 s2, exec_lo
	v_cmpx_ne_u64_e32 0, v[10:11]
	s_xor_b32 s26, exec_lo, s2
	s_cbranch_execz .LBB6_23
; %bb.22:
	s_cvt_f32_u32 s2, s16
	s_cvt_f32_u32 s27, s17
	s_sub_nc_u64 s[34:35], 0, s[16:17]
	s_mov_b32 s39, 0
	v_dual_mov_b32 v6, v8 :: v_dual_mov_b32 v7, v10
	s_fmamk_f32 s2, s27, 0x4f800000, s2
	v_dual_mov_b32 v12, v9 :: v_dual_mov_b32 v13, v10
	v_dual_mov_b32 v17, v10 :: v_dual_mov_b32 v11, v10
	s_delay_alu instid0(SALU_CYCLE_1) | instskip(NEXT) | instid1(TRANS32_DEP_1)
	v_s_rcp_f32 s2, s2
	s_mul_f32 s2, s2, 0x5f7ffffc
	s_delay_alu instid0(SALU_CYCLE_3) | instskip(NEXT) | instid1(SALU_CYCLE_3)
	s_mul_f32 s27, s2, 0x2f800000
	s_trunc_f32 s27, s27
	s_delay_alu instid0(SALU_CYCLE_3) | instskip(SKIP_1) | instid1(SALU_CYCLE_2)
	s_fmamk_f32 s2, s27, 0xcf800000, s2
	s_cvt_u32_f32 s31, s27
	s_cvt_u32_f32 s30, s2
	s_delay_alu instid0(SALU_CYCLE_3) | instskip(NEXT) | instid1(SALU_CYCLE_1)
	s_mul_u64 s[36:37], s[34:35], s[30:31]
	s_mul_hi_u32 s41, s30, s37
	s_mul_i32 s40, s30, s37
	s_mul_hi_u32 s38, s30, s36
	s_mul_i32 s27, s31, s36
	s_add_nc_u64 s[40:41], s[38:39], s[40:41]
	s_mul_hi_u32 s2, s31, s36
	s_mul_hi_u32 s29, s31, s37
	s_add_co_u32 s27, s40, s27
	s_add_co_ci_u32 s38, s41, s2
	s_mul_i32 s36, s31, s37
	s_add_co_ci_u32 s37, s29, 0
	s_delay_alu instid0(SALU_CYCLE_1) | instskip(NEXT) | instid1(SALU_CYCLE_1)
	s_add_nc_u64 s[36:37], s[38:39], s[36:37]
	s_add_co_u32 s30, s30, s36
	s_cselect_b32 s2, -1, 0
	s_delay_alu instid0(SALU_CYCLE_1) | instskip(SKIP_1) | instid1(SALU_CYCLE_1)
	s_cmp_lg_u32 s2, 0
	s_add_co_ci_u32 s31, s31, s37
	s_mul_u64 s[34:35], s[34:35], s[30:31]
	s_delay_alu instid0(SALU_CYCLE_1)
	s_mul_hi_u32 s37, s30, s35
	s_mul_i32 s36, s30, s35
	s_mul_hi_u32 s38, s30, s34
	s_mul_i32 s27, s31, s34
	s_add_nc_u64 s[36:37], s[38:39], s[36:37]
	s_mul_hi_u32 s2, s31, s34
	s_mul_hi_u32 s29, s31, s35
	s_add_co_u32 s27, s36, s27
	s_add_co_ci_u32 s38, s37, s2
	s_mul_i32 s34, s31, s35
	s_add_co_ci_u32 s35, s29, 0
	s_delay_alu instid0(SALU_CYCLE_1) | instskip(NEXT) | instid1(SALU_CYCLE_1)
	s_add_nc_u64 s[34:35], s[38:39], s[34:35]
	s_add_co_u32 s2, s30, s34
	s_cselect_b32 s27, -1, 0
	v_nop
	v_mul_hi_u32 v16, v8, s2
	s_cmp_lg_u32 s27, 0
	s_add_co_ci_u32 s38, s31, s35
	s_mov_b64 s[30:31], 0xffffffff
	v_mul_u64_e32 v[6:7], s[38:39], v[6:7]
	s_and_b64 s[30:31], s[2:3], s[30:31]
	s_delay_alu instid0(SALU_CYCLE_1) | instskip(SKIP_1) | instid1(VALU_DEP_3)
	v_mul_u64_e32 v[14:15], s[30:31], v[12:13]
	v_mul_u64_e32 v[12:13], s[38:39], v[12:13]
	v_add_nc_u64_e32 v[6:7], v[16:17], v[6:7]
	s_delay_alu instid0(VALU_DEP_1) | instskip(NEXT) | instid1(VALU_DEP_2)
	v_add_co_u32 v6, vcc_lo, v6, v14
	v_add_co_ci_u32_e32 v10, vcc_lo, v7, v15, vcc_lo
	s_delay_alu instid0(VALU_DEP_4) | instskip(NEXT) | instid1(VALU_DEP_1)
	v_add_co_ci_u32_e32 v13, vcc_lo, 0, v13, vcc_lo
	v_add_nc_u64_e32 v[6:7], v[10:11], v[12:13]
	s_delay_alu instid0(VALU_DEP_1) | instskip(NEXT) | instid1(VALU_DEP_1)
	v_mul_u64_e32 v[6:7], s[16:17], v[6:7]
	v_sub_nc_u32_e32 v10, v9, v7
	s_delay_alu instid0(VALU_DEP_2) | instskip(NEXT) | instid1(VALU_DEP_1)
	v_sub_co_u32 v6, vcc_lo, v8, v6
	v_sub_co_ci_u32_e64 v7, null, v9, v7, vcc_lo
	s_delay_alu instid0(VALU_DEP_3) | instskip(NEXT) | instid1(VALU_DEP_3)
	v_subrev_co_ci_u32_e64 v8, null, s17, v10, vcc_lo
	v_sub_co_u32 v9, vcc_lo, v6, s16
	v_cmp_le_u32_e64 s2, s16, v6
	s_delay_alu instid0(VALU_DEP_3) | instskip(SKIP_1) | instid1(VALU_DEP_3)
	v_subrev_co_ci_u32_e64 v10, null, 0, v8, vcc_lo
	v_subrev_co_ci_u32_e64 v8, null, s17, v8, vcc_lo
	v_cndmask_b32_e64 v11, 0, -1, s2
	v_cmp_le_u32_e64 s2, s16, v9
	v_cmp_le_u32_e32 vcc_lo, s17, v7
	s_delay_alu instid0(VALU_DEP_2) | instskip(SKIP_3) | instid1(VALU_DEP_3)
	v_cndmask_b32_e64 v12, 0, -1, s2
	v_cmp_le_u32_e64 s2, s17, v10
	v_cndmask_b32_e64 v14, 0, -1, vcc_lo
	v_cmp_eq_u32_e32 vcc_lo, s17, v10
	v_cndmask_b32_e64 v13, 0, -1, s2
	s_delay_alu instid0(VALU_DEP_1) | instskip(SKIP_1) | instid1(VALU_DEP_1)
	v_cndmask_b32_e32 v10, v13, v12, vcc_lo
	v_sub_co_u32 v12, vcc_lo, v9, s16
	v_subrev_co_ci_u32_e64 v8, null, 0, v8, vcc_lo
	v_cmp_eq_u32_e32 vcc_lo, s17, v7
	v_cndmask_b32_e32 v7, v14, v11, vcc_lo
	v_cmp_ne_u32_e32 vcc_lo, 0, v10
	v_cndmask_b32_e32 v8, v9, v12, vcc_lo
	s_delay_alu instid0(VALU_DEP_3) | instskip(NEXT) | instid1(VALU_DEP_2)
	v_cmp_ne_u32_e32 vcc_lo, 0, v7
	v_cndmask_b32_e32 v6, v6, v8, vcc_lo
                                        ; implicit-def: $vgpr8_vgpr9
.LBB6_23:
	s_and_not1_saveexec_b32 s2, s26
	s_cbranch_execz .LBB6_25
; %bb.24:
	v_cvt_f32_u32_e32 v6, s16
	s_sub_co_i32 s26, 0, s16
	s_delay_alu instid0(VALU_DEP_1) | instskip(SKIP_1) | instid1(TRANS32_DEP_1)
	v_rcp_iflag_f32_e32 v6, v6
	v_nop
	v_mul_f32_e32 v6, 0x4f7ffffe, v6
	s_delay_alu instid0(VALU_DEP_1) | instskip(NEXT) | instid1(VALU_DEP_1)
	v_cvt_u32_f32_e32 v6, v6
	v_mul_lo_u32 v7, s26, v6
	s_delay_alu instid0(VALU_DEP_1) | instskip(NEXT) | instid1(VALU_DEP_1)
	v_mul_hi_u32 v7, v6, v7
	v_add_nc_u32_e32 v6, v6, v7
	s_delay_alu instid0(VALU_DEP_1) | instskip(NEXT) | instid1(VALU_DEP_1)
	v_mul_hi_u32 v6, v8, v6
	v_mul_lo_u32 v6, v6, s16
	s_delay_alu instid0(VALU_DEP_1) | instskip(NEXT) | instid1(VALU_DEP_1)
	v_sub_nc_u32_e32 v6, v8, v6
	v_subrev_nc_u32_e32 v7, s16, v6
	v_cmp_le_u32_e32 vcc_lo, s16, v6
	s_delay_alu instid0(VALU_DEP_2) | instskip(NEXT) | instid1(VALU_DEP_1)
	v_cndmask_b32_e32 v6, v6, v7, vcc_lo
	v_subrev_nc_u32_e32 v7, s16, v6
	v_cmp_le_u32_e32 vcc_lo, s16, v6
	s_delay_alu instid0(VALU_DEP_2)
	v_cndmask_b32_e32 v6, v6, v7, vcc_lo
.LBB6_25:
	s_or_b32 exec_lo, exec_lo, s2
	v_dual_mov_b32 v8, 0 :: v_dual_bitop2_b32 v9, s19, v5 bitop3:0x54
                                        ; implicit-def: $vgpr10_vgpr11
	s_mov_b32 s2, exec_lo
	s_delay_alu instid0(VALU_DEP_1)
	v_cmpx_ne_u64_e32 0, v[8:9]
	s_xor_b32 s26, exec_lo, s2
	s_cbranch_execz .LBB6_27
; %bb.26:
	s_fmamk_f32 s2, s28, 0x4f800000, s3
	s_mov_b32 s31, 0
	v_dual_mov_b32 v10, v4 :: v_dual_mov_b32 v11, v8
	s_delay_alu instid0(SALU_CYCLE_1) | instskip(SKIP_2) | instid1(TRANS32_DEP_1)
	v_s_rcp_f32 s2, s2
	v_dual_mov_b32 v12, v5 :: v_dual_mov_b32 v13, v8
	v_dual_mov_b32 v17, v8 :: v_dual_mov_b32 v9, v8
	s_mul_f32 s2, s2, 0x5f7ffffc
	s_delay_alu instid0(SALU_CYCLE_3) | instskip(NEXT) | instid1(SALU_CYCLE_3)
	s_mul_f32 s3, s2, 0x2f800000
	s_trunc_f32 s3, s3
	s_delay_alu instid0(SALU_CYCLE_3) | instskip(SKIP_1) | instid1(SALU_CYCLE_2)
	s_fmamk_f32 s2, s3, 0xcf800000, s2
	s_cvt_u32_f32 s3, s3
	s_cvt_u32_f32 s2, s2
	s_delay_alu instid0(SALU_CYCLE_3) | instskip(NEXT) | instid1(SALU_CYCLE_1)
	s_mul_u64 s[28:29], s[24:25], s[2:3]
	s_mul_hi_u32 s35, s2, s29
	s_mul_i32 s34, s2, s29
	s_mul_hi_u32 s30, s2, s28
	s_mul_i32 s33, s3, s28
	s_add_nc_u64 s[34:35], s[30:31], s[34:35]
	s_mul_hi_u32 s27, s3, s28
	s_mul_hi_u32 s36, s3, s29
	s_mul_i32 s28, s3, s29
	s_add_co_u32 s29, s34, s33
	s_add_co_ci_u32 s30, s35, s27
	s_add_co_ci_u32 s29, s36, 0
	s_delay_alu instid0(SALU_CYCLE_1) | instskip(NEXT) | instid1(SALU_CYCLE_1)
	s_add_nc_u64 s[28:29], s[30:31], s[28:29]
	s_add_co_u32 s2, s2, s28
	s_cselect_b32 s27, -1, 0
	s_delay_alu instid0(SALU_CYCLE_1) | instskip(SKIP_1) | instid1(SALU_CYCLE_1)
	s_cmp_lg_u32 s27, 0
	s_add_co_ci_u32 s3, s3, s29
	s_mul_u64 s[24:25], s[24:25], s[2:3]
	s_delay_alu instid0(SALU_CYCLE_1)
	s_mul_hi_u32 s29, s2, s25
	s_mul_i32 s28, s2, s25
	s_mul_hi_u32 s30, s2, s24
	s_mul_i32 s33, s3, s24
	s_add_nc_u64 s[28:29], s[30:31], s[28:29]
	s_mul_hi_u32 s27, s3, s24
	s_mul_hi_u32 s34, s3, s25
	s_mul_i32 s24, s3, s25
	s_add_co_u32 s25, s28, s33
	s_add_co_ci_u32 s30, s29, s27
	s_add_co_ci_u32 s25, s34, 0
	s_delay_alu instid0(SALU_CYCLE_1) | instskip(NEXT) | instid1(SALU_CYCLE_1)
	s_add_nc_u64 s[24:25], s[30:31], s[24:25]
	s_add_co_u32 s2, s2, s24
	s_cselect_b32 s24, -1, 0
	v_mul_hi_u32 v16, v4, s2
	s_cmp_lg_u32 s24, 0
	s_add_co_ci_u32 s30, s3, s25
	s_mov_b64 s[24:25], 0xffffffff
	v_mul_u64_e32 v[10:11], s[30:31], v[10:11]
	s_and_b64 s[24:25], s[2:3], s[24:25]
	s_delay_alu instid0(SALU_CYCLE_1) | instskip(SKIP_1) | instid1(VALU_DEP_3)
	v_mul_u64_e32 v[14:15], s[24:25], v[12:13]
	v_mul_u64_e32 v[12:13], s[30:31], v[12:13]
	v_add_nc_u64_e32 v[10:11], v[16:17], v[10:11]
	s_delay_alu instid0(VALU_DEP_1) | instskip(NEXT) | instid1(VALU_DEP_2)
	v_add_co_u32 v3, vcc_lo, v10, v14
	v_add_co_ci_u32_e32 v8, vcc_lo, v11, v15, vcc_lo
	s_delay_alu instid0(VALU_DEP_4) | instskip(NEXT) | instid1(VALU_DEP_1)
	v_add_co_ci_u32_e32 v13, vcc_lo, 0, v13, vcc_lo
	v_add_nc_u64_e32 v[8:9], v[8:9], v[12:13]
	s_delay_alu instid0(VALU_DEP_1) | instskip(NEXT) | instid1(VALU_DEP_1)
	v_mul_u64_e32 v[8:9], s[18:19], v[8:9]
	v_sub_nc_u32_e32 v3, v5, v9
	s_delay_alu instid0(VALU_DEP_2) | instskip(NEXT) | instid1(VALU_DEP_1)
	v_sub_co_u32 v7, vcc_lo, v4, v8
	v_sub_co_ci_u32_e64 v5, null, v5, v9, vcc_lo
	s_delay_alu instid0(VALU_DEP_3) | instskip(NEXT) | instid1(VALU_DEP_3)
	v_subrev_co_ci_u32_e64 v3, null, s19, v3, vcc_lo
	v_sub_co_u32 v8, vcc_lo, v7, s18
	v_cmp_le_u32_e64 s2, s18, v7
	s_delay_alu instid0(VALU_DEP_3) | instskip(SKIP_1) | instid1(VALU_DEP_3)
	v_subrev_co_ci_u32_e64 v9, null, 0, v3, vcc_lo
	v_subrev_co_ci_u32_e64 v3, null, s19, v3, vcc_lo
	v_cndmask_b32_e64 v10, 0, -1, s2
	v_cmp_le_u32_e64 s2, s18, v8
	v_cmp_le_u32_e32 vcc_lo, s19, v5
	s_delay_alu instid0(VALU_DEP_2) | instskip(SKIP_3) | instid1(VALU_DEP_3)
	v_cndmask_b32_e64 v11, 0, -1, s2
	v_cmp_le_u32_e64 s2, s19, v9
	v_cndmask_b32_e64 v13, 0, -1, vcc_lo
	v_cmp_eq_u32_e32 vcc_lo, s19, v9
	v_cndmask_b32_e64 v12, 0, -1, s2
	s_delay_alu instid0(VALU_DEP_1) | instskip(SKIP_1) | instid1(VALU_DEP_1)
	v_cndmask_b32_e32 v9, v12, v11, vcc_lo
	v_sub_co_u32 v11, vcc_lo, v8, s18
	v_subrev_co_ci_u32_e64 v3, null, 0, v3, vcc_lo
	v_cmp_eq_u32_e32 vcc_lo, s19, v5
	v_cndmask_b32_e32 v3, v13, v10, vcc_lo
	v_cmp_ne_u32_e32 vcc_lo, 0, v9
	v_cndmask_b32_e32 v5, v8, v11, vcc_lo
	s_delay_alu instid0(VALU_DEP_3) | instskip(NEXT) | instid1(VALU_DEP_2)
	v_cmp_ne_u32_e32 vcc_lo, 0, v3
                                        ; implicit-def: $vgpr3
	v_cndmask_b32_e32 v10, v7, v5, vcc_lo
.LBB6_27:
	s_and_not1_saveexec_b32 s2, s26
	s_cbranch_execz .LBB6_29
; %bb.28:
	v_rcp_iflag_f32_e32 v3, v3
	s_sub_co_i32 s3, 0, s18
	v_nop
	s_delay_alu instid0(TRANS32_DEP_1) | instskip(NEXT) | instid1(VALU_DEP_1)
	v_mul_f32_e32 v3, 0x4f7ffffe, v3
	v_cvt_u32_f32_e32 v3, v3
	s_delay_alu instid0(VALU_DEP_1) | instskip(NEXT) | instid1(VALU_DEP_1)
	v_mul_lo_u32 v5, s3, v3
	v_mul_hi_u32 v5, v3, v5
	s_delay_alu instid0(VALU_DEP_1) | instskip(NEXT) | instid1(VALU_DEP_1)
	v_add_nc_u32_e32 v3, v3, v5
	v_mul_hi_u32 v3, v4, v3
	s_delay_alu instid0(VALU_DEP_1) | instskip(NEXT) | instid1(VALU_DEP_1)
	v_mul_lo_u32 v3, v3, s18
	v_sub_nc_u32_e32 v3, v4, v3
	s_delay_alu instid0(VALU_DEP_1) | instskip(SKIP_1) | instid1(VALU_DEP_2)
	v_subrev_nc_u32_e32 v5, s18, v3
	v_cmp_le_u32_e32 vcc_lo, s18, v3
	v_cndmask_b32_e32 v3, v3, v5, vcc_lo
	s_delay_alu instid0(VALU_DEP_1) | instskip(SKIP_1) | instid1(VALU_DEP_2)
	v_subrev_nc_u32_e32 v5, s18, v3
	v_cmp_le_u32_e32 vcc_lo, s18, v3
	v_cndmask_b32_e32 v10, v3, v5, vcc_lo
.LBB6_29:
	s_or_b32 exec_lo, exec_lo, s2
	v_mul_lo_u32 v3, v4, s20
	s_load_b96 s[0:2], s[0:1], 0x50
	s_delay_alu instid0(VALU_DEP_2) | instskip(SKIP_1) | instid1(VALU_DEP_2)
	v_cvt_f32_i32_e32 v4, v10
	v_cvt_f32_i32_e32 v5, v6
	v_dual_ashrrev_i32 v8, 31, v2 :: v_dual_add_f32 v4, 0.5, v4
	s_delay_alu instid0(VALU_DEP_2) | instskip(SKIP_1) | instid1(VALU_DEP_2)
	v_dual_add_f32 v5, 0.5, v5 :: v_dual_sub_nc_u32 v3, v0, v3
	v_lshl_add_u64 v[0:1], v[0:1], 2, s[22:23]
	v_cvt_f32_i32_e32 v3, v3
	s_wait_kmcnt 0x0
	s_delay_alu instid0(VALU_DEP_1) | instskip(SKIP_2) | instid1(VALU_DEP_2)
	v_dual_add_f32 v3, 0.5, v3 :: v_dual_mul_f32 v6, s1, v4
	v_mul_f32_e32 v5, s0, v5
	s_mul_u64 s[0:1], s[14:15], s[12:13]
	v_mul_f32_e32 v3, s2, v3
	s_mul_u64 s[0:1], s[0:1], s[10:11]
	s_mul_u64 s[2:3], s[20:21], s[18:19]
	s_delay_alu instid0(SALU_CYCLE_1) | instskip(NEXT) | instid1(VALU_DEP_1)
	s_mul_u64 s[2:3], s[2:3], s[16:17]
	v_floor_f32_e32 v3, v3
	s_mul_u64 s[2:3], s[2:3], s[8:9]
	s_delay_alu instid0(SALU_CYCLE_1) | instskip(NEXT) | instid1(VALU_DEP_1)
	s_lshl_b64 s[2:3], s[2:3], 2
	v_cvt_i32_f32_e32 v3, v3
	s_delay_alu instid0(VALU_DEP_1) | instskip(SKIP_2) | instid1(VALU_DEP_3)
	v_add_min_i32_e64 v4, s14, -1, v3
	v_floor_f32_e32 v3, v6
	v_floor_f32_e32 v6, v5
	v_ashrrev_i32_e32 v5, 31, v4
	s_delay_alu instid0(VALU_DEP_3) | instskip(NEXT) | instid1(VALU_DEP_3)
	v_cvt_i32_f32_e32 v3, v3
	v_cvt_i32_f32_e32 v7, v6
	s_delay_alu instid0(VALU_DEP_3) | instskip(NEXT) | instid1(VALU_DEP_3)
	v_mad_nc_u64_u32 v[4:5], v2, s0, v[4:5]
	v_add_min_i32_e64 v6, s12, -1, v3
	s_delay_alu instid0(VALU_DEP_3) | instskip(NEXT) | instid1(VALU_DEP_2)
	v_add_min_i32_e64 v3, s10, -1, v7
	v_ashrrev_i32_e32 v7, 31, v6
	s_delay_alu instid0(VALU_DEP_1) | instskip(SKIP_1) | instid1(VALU_DEP_2)
	v_mad_nc_u64_u32 v[6:7], s12, v3, v[6:7]
	v_mad_u32 v5, v8, s0, v5
	v_mad_u32 v7, s13, v3, v7
	s_delay_alu instid0(VALU_DEP_2) | instskip(SKIP_3) | instid1(VALU_DEP_1)
	v_mad_u32 v5, v2, s1, v5
	v_ashrrev_i32_e32 v2, 31, v3
	s_mul_u64 s[0:1], s[0:1], s[8:9]
	s_mov_b64 s[8:9], 0
	v_mad_u32 v7, s12, v2, v7
	s_delay_alu instid0(VALU_DEP_3) | instskip(NEXT) | instid1(VALU_DEP_1)
	v_mad_nc_u64_u32 v[2:3], v6, s14, v[4:5]
	v_mad_u32 v3, v7, s14, v3
	s_delay_alu instid0(VALU_DEP_1)
	v_mad_u32 v3, v6, s15, v3
.LBB6_30:                               ; =>This Inner Loop Header: Depth=1
	s_delay_alu instid0(VALU_DEP_1)
	v_lshl_add_u64 v[4:5], v[2:3], 2, s[4:5]
	s_add_nc_u64 s[8:9], s[8:9], 1
	v_add_nc_u64_e32 v[2:3], s[0:1], v[2:3]
	v_cmp_gt_u64_e64 s10, s[6:7], s[8:9]
	global_load_b32 v4, v[4:5], off
	s_and_b32 vcc_lo, exec_lo, s10
	s_wait_loadcnt 0x0
	global_store_b32 v[0:1], v4, off
	s_wait_xcnt 0x0
	v_add_nc_u64_e32 v[0:1], s[2:3], v[0:1]
	s_cbranch_vccnz .LBB6_30
.LBB6_31:
	s_endpgm
	.section	.rodata,"a",@progbits
	.p2align	6, 0x0
	.amdhsa_kernel _ZN2at6native12_GLOBAL__N_128upsample_nearest3d_out_frameIfXadL_ZNS0_43nearest_neighbor_exact_compute_source_indexEfiiEEEEvPKT_mmmmmmmmPS3_fff
		.amdhsa_group_segment_fixed_size 0
		.amdhsa_private_segment_fixed_size 0
		.amdhsa_kernarg_size 352
		.amdhsa_user_sgpr_count 2
		.amdhsa_user_sgpr_dispatch_ptr 0
		.amdhsa_user_sgpr_queue_ptr 0
		.amdhsa_user_sgpr_kernarg_segment_ptr 1
		.amdhsa_user_sgpr_dispatch_id 0
		.amdhsa_user_sgpr_kernarg_preload_length 0
		.amdhsa_user_sgpr_kernarg_preload_offset 0
		.amdhsa_user_sgpr_private_segment_size 0
		.amdhsa_wavefront_size32 1
		.amdhsa_uses_dynamic_stack 0
		.amdhsa_enable_private_segment 0
		.amdhsa_system_sgpr_workgroup_id_x 1
		.amdhsa_system_sgpr_workgroup_id_y 0
		.amdhsa_system_sgpr_workgroup_id_z 0
		.amdhsa_system_sgpr_workgroup_info 0
		.amdhsa_system_vgpr_workitem_id 0
		.amdhsa_next_free_vgpr 18
		.amdhsa_next_free_sgpr 43
		.amdhsa_named_barrier_count 0
		.amdhsa_reserve_vcc 1
		.amdhsa_float_round_mode_32 0
		.amdhsa_float_round_mode_16_64 0
		.amdhsa_float_denorm_mode_32 3
		.amdhsa_float_denorm_mode_16_64 3
		.amdhsa_fp16_overflow 0
		.amdhsa_memory_ordered 1
		.amdhsa_forward_progress 1
		.amdhsa_inst_pref_size 43
		.amdhsa_round_robin_scheduling 0
		.amdhsa_exception_fp_ieee_invalid_op 0
		.amdhsa_exception_fp_denorm_src 0
		.amdhsa_exception_fp_ieee_div_zero 0
		.amdhsa_exception_fp_ieee_overflow 0
		.amdhsa_exception_fp_ieee_underflow 0
		.amdhsa_exception_fp_ieee_inexact 0
		.amdhsa_exception_int_div_zero 0
	.end_amdhsa_kernel
	.section	.text._ZN2at6native12_GLOBAL__N_128upsample_nearest3d_out_frameIfXadL_ZNS0_43nearest_neighbor_exact_compute_source_indexEfiiEEEEvPKT_mmmmmmmmPS3_fff,"axG",@progbits,_ZN2at6native12_GLOBAL__N_128upsample_nearest3d_out_frameIfXadL_ZNS0_43nearest_neighbor_exact_compute_source_indexEfiiEEEEvPKT_mmmmmmmmPS3_fff,comdat
.Lfunc_end6:
	.size	_ZN2at6native12_GLOBAL__N_128upsample_nearest3d_out_frameIfXadL_ZNS0_43nearest_neighbor_exact_compute_source_indexEfiiEEEEvPKT_mmmmmmmmPS3_fff, .Lfunc_end6-_ZN2at6native12_GLOBAL__N_128upsample_nearest3d_out_frameIfXadL_ZNS0_43nearest_neighbor_exact_compute_source_indexEfiiEEEEvPKT_mmmmmmmmPS3_fff
                                        ; -- End function
	.set _ZN2at6native12_GLOBAL__N_128upsample_nearest3d_out_frameIfXadL_ZNS0_43nearest_neighbor_exact_compute_source_indexEfiiEEEEvPKT_mmmmmmmmPS3_fff.num_vgpr, 18
	.set _ZN2at6native12_GLOBAL__N_128upsample_nearest3d_out_frameIfXadL_ZNS0_43nearest_neighbor_exact_compute_source_indexEfiiEEEEvPKT_mmmmmmmmPS3_fff.num_agpr, 0
	.set _ZN2at6native12_GLOBAL__N_128upsample_nearest3d_out_frameIfXadL_ZNS0_43nearest_neighbor_exact_compute_source_indexEfiiEEEEvPKT_mmmmmmmmPS3_fff.numbered_sgpr, 43
	.set _ZN2at6native12_GLOBAL__N_128upsample_nearest3d_out_frameIfXadL_ZNS0_43nearest_neighbor_exact_compute_source_indexEfiiEEEEvPKT_mmmmmmmmPS3_fff.num_named_barrier, 0
	.set _ZN2at6native12_GLOBAL__N_128upsample_nearest3d_out_frameIfXadL_ZNS0_43nearest_neighbor_exact_compute_source_indexEfiiEEEEvPKT_mmmmmmmmPS3_fff.private_seg_size, 0
	.set _ZN2at6native12_GLOBAL__N_128upsample_nearest3d_out_frameIfXadL_ZNS0_43nearest_neighbor_exact_compute_source_indexEfiiEEEEvPKT_mmmmmmmmPS3_fff.uses_vcc, 1
	.set _ZN2at6native12_GLOBAL__N_128upsample_nearest3d_out_frameIfXadL_ZNS0_43nearest_neighbor_exact_compute_source_indexEfiiEEEEvPKT_mmmmmmmmPS3_fff.uses_flat_scratch, 0
	.set _ZN2at6native12_GLOBAL__N_128upsample_nearest3d_out_frameIfXadL_ZNS0_43nearest_neighbor_exact_compute_source_indexEfiiEEEEvPKT_mmmmmmmmPS3_fff.has_dyn_sized_stack, 0
	.set _ZN2at6native12_GLOBAL__N_128upsample_nearest3d_out_frameIfXadL_ZNS0_43nearest_neighbor_exact_compute_source_indexEfiiEEEEvPKT_mmmmmmmmPS3_fff.has_recursion, 0
	.set _ZN2at6native12_GLOBAL__N_128upsample_nearest3d_out_frameIfXadL_ZNS0_43nearest_neighbor_exact_compute_source_indexEfiiEEEEvPKT_mmmmmmmmPS3_fff.has_indirect_call, 0
	.section	.AMDGPU.csdata,"",@progbits
; Kernel info:
; codeLenInByte = 5416
; TotalNumSgprs: 45
; NumVgprs: 18
; ScratchSize: 0
; MemoryBound: 0
; FloatMode: 240
; IeeeMode: 1
; LDSByteSize: 0 bytes/workgroup (compile time only)
; SGPRBlocks: 0
; VGPRBlocks: 1
; NumSGPRsForWavesPerEU: 45
; NumVGPRsForWavesPerEU: 18
; NamedBarCnt: 0
; Occupancy: 16
; WaveLimiterHint : 0
; COMPUTE_PGM_RSRC2:SCRATCH_EN: 0
; COMPUTE_PGM_RSRC2:USER_SGPR: 2
; COMPUTE_PGM_RSRC2:TRAP_HANDLER: 0
; COMPUTE_PGM_RSRC2:TGID_X_EN: 1
; COMPUTE_PGM_RSRC2:TGID_Y_EN: 0
; COMPUTE_PGM_RSRC2:TGID_Z_EN: 0
; COMPUTE_PGM_RSRC2:TIDIG_COMP_CNT: 0
	.section	.text._ZN2at6native12_GLOBAL__N_128upsample_nearest3d_out_frameIN3c104HalfEXadL_ZNS0_43nearest_neighbor_exact_compute_source_indexEfiiEEEEvPKT_mmmmmmmmPS5_fff,"axG",@progbits,_ZN2at6native12_GLOBAL__N_128upsample_nearest3d_out_frameIN3c104HalfEXadL_ZNS0_43nearest_neighbor_exact_compute_source_indexEfiiEEEEvPKT_mmmmmmmmPS5_fff,comdat
	.globl	_ZN2at6native12_GLOBAL__N_128upsample_nearest3d_out_frameIN3c104HalfEXadL_ZNS0_43nearest_neighbor_exact_compute_source_indexEfiiEEEEvPKT_mmmmmmmmPS5_fff ; -- Begin function _ZN2at6native12_GLOBAL__N_128upsample_nearest3d_out_frameIN3c104HalfEXadL_ZNS0_43nearest_neighbor_exact_compute_source_indexEfiiEEEEvPKT_mmmmmmmmPS5_fff
	.p2align	8
	.type	_ZN2at6native12_GLOBAL__N_128upsample_nearest3d_out_frameIN3c104HalfEXadL_ZNS0_43nearest_neighbor_exact_compute_source_indexEfiiEEEEvPKT_mmmmmmmmPS5_fff,@function
_ZN2at6native12_GLOBAL__N_128upsample_nearest3d_out_frameIN3c104HalfEXadL_ZNS0_43nearest_neighbor_exact_compute_source_indexEfiiEEEEvPKT_mmmmmmmmPS5_fff: ; @_ZN2at6native12_GLOBAL__N_128upsample_nearest3d_out_frameIN3c104HalfEXadL_ZNS0_43nearest_neighbor_exact_compute_source_indexEfiiEEEEvPKT_mmmmmmmmPS5_fff
; %bb.0:
	s_clause 0x2
	s_load_b32 s2, s[0:1], 0x6c
	s_load_b512 s[4:19], s[0:1], 0x0
	s_load_b128 s[20:23], s[0:1], 0x40
	s_bfe_u32 s3, ttmp6, 0x4000c
	v_mov_b32_e32 v2, 0
	s_add_co_i32 s3, s3, 1
	s_and_b32 s24, ttmp6, 15
	s_mul_i32 s3, ttmp9, s3
	s_getreg_b32 s25, hwreg(HW_REG_IB_STS2, 6, 4)
	v_mov_b32_e32 v1, v2
	s_add_co_i32 s24, s24, s3
	s_wait_kmcnt 0x0
	s_and_b32 s2, s2, 0xffff
	s_cmp_eq_u32 s25, 0
	s_cselect_b32 s3, ttmp9, s24
	s_cmp_lg_u64 s[6:7], 0
	v_mad_nc_u64_u32 v[0:1], s2, s3, v[0:1]
	s_mul_u64 s[2:3], s[18:19], s[16:17]
	s_delay_alu instid0(SALU_CYCLE_1) | instskip(NEXT) | instid1(SALU_CYCLE_1)
	s_mul_u64 s[24:25], s[2:3], s[8:9]
	s_mul_u64 s[24:25], s[24:25], s[20:21]
	s_delay_alu instid0(VALU_DEP_1) | instid1(SALU_CYCLE_1)
	v_cmp_gt_u64_e32 vcc_lo, s[24:25], v[0:1]
	s_cselect_b32 s24, -1, 0
	s_delay_alu instid0(SALU_CYCLE_1) | instskip(NEXT) | instid1(SALU_CYCLE_1)
	s_and_b32 s24, vcc_lo, s24
	s_and_saveexec_b32 s25, s24
	s_cbranch_execz .LBB7_31
; %bb.1:
	s_mul_u64 s[24:25], s[2:3], s[20:21]
                                        ; implicit-def: $vgpr4_vgpr5
	s_mov_b32 s2, exec_lo
	v_or_b32_e32 v3, s25, v1
	s_delay_alu instid0(VALU_DEP_1)
	v_cmpx_ne_u64_e32 0, v[2:3]
	s_xor_b32 s3, exec_lo, s2
	s_cbranch_execz .LBB7_3
; %bb.2:
	s_ashr_i32 s26, s25, 31
	s_mov_b32 s39, 0
	s_mov_b32 s27, s26
	v_dual_mov_b32 v7, 0 :: v_dual_ashrrev_i32 v2, 31, v1
	s_add_nc_u64 s[28:29], s[24:25], s[26:27]
	s_delay_alu instid0(SALU_CYCLE_1) | instskip(NEXT) | instid1(VALU_DEP_1)
	s_xor_b64 s[28:29], s[28:29], s[26:27]
	v_mov_b32_e32 v3, v2
	s_cvt_f32_u32 s2, s28
	s_cvt_f32_u32 s25, s29
	s_sub_nc_u64 s[34:35], 0, s[28:29]
	s_delay_alu instid0(VALU_DEP_1) | instskip(NEXT) | instid1(SALU_CYCLE_1)
	v_add_nc_u64_e32 v[4:5], v[0:1], v[2:3]
	s_fmamk_f32 s2, s25, 0x4f800000, s2
	v_mov_b32_e32 v9, v7
	s_delay_alu instid0(SALU_CYCLE_2) | instskip(NEXT) | instid1(VALU_DEP_2)
	v_s_rcp_f32 s2, s2
	v_xor_b32_e32 v6, v4, v2
	s_delay_alu instid0(VALU_DEP_3) | instskip(SKIP_1) | instid1(TRANS32_DEP_1)
	v_dual_mov_b32 v15, v7 :: v_dual_bitop2_b32 v8, v5, v2 bitop3:0x14
	v_xor_b32_e32 v2, s26, v2
	s_mul_f32 s2, s2, 0x5f7ffffc
	s_delay_alu instid0(SALU_CYCLE_3) | instskip(NEXT) | instid1(SALU_CYCLE_3)
	s_mul_f32 s25, s2, 0x2f800000
	s_trunc_f32 s25, s25
	s_delay_alu instid0(SALU_CYCLE_3) | instskip(SKIP_1) | instid1(SALU_CYCLE_2)
	s_fmamk_f32 s2, s25, 0xcf800000, s2
	s_cvt_u32_f32 s31, s25
	s_cvt_u32_f32 s30, s2
	s_delay_alu instid0(SALU_CYCLE_3) | instskip(NEXT) | instid1(SALU_CYCLE_1)
	s_mul_u64 s[36:37], s[34:35], s[30:31]
	s_mul_hi_u32 s41, s30, s37
	s_mul_i32 s40, s30, s37
	s_mul_hi_u32 s38, s30, s36
	s_mul_i32 s25, s31, s36
	s_add_nc_u64 s[40:41], s[38:39], s[40:41]
	s_mul_hi_u32 s2, s31, s36
	s_mul_hi_u32 s27, s31, s37
	s_add_co_u32 s25, s40, s25
	s_add_co_ci_u32 s38, s41, s2
	s_mul_i32 s36, s31, s37
	s_add_co_ci_u32 s37, s27, 0
	s_delay_alu instid0(SALU_CYCLE_1) | instskip(NEXT) | instid1(SALU_CYCLE_1)
	s_add_nc_u64 s[36:37], s[38:39], s[36:37]
	s_add_co_u32 s30, s30, s36
	s_cselect_b32 s2, -1, 0
	s_delay_alu instid0(SALU_CYCLE_1) | instskip(SKIP_1) | instid1(SALU_CYCLE_1)
	s_cmp_lg_u32 s2, 0
	s_add_co_ci_u32 s31, s31, s37
	s_mul_u64 s[34:35], s[34:35], s[30:31]
	s_delay_alu instid0(SALU_CYCLE_1)
	s_mul_hi_u32 s37, s30, s35
	s_mul_i32 s36, s30, s35
	s_mul_hi_u32 s38, s30, s34
	s_mul_i32 s25, s31, s34
	s_add_nc_u64 s[36:37], s[38:39], s[36:37]
	s_mul_hi_u32 s2, s31, s34
	s_mul_hi_u32 s27, s31, s35
	s_add_co_u32 s25, s36, s25
	s_add_co_ci_u32 s38, s37, s2
	s_mul_i32 s34, s31, s35
	s_add_co_ci_u32 s35, s27, 0
	s_delay_alu instid0(SALU_CYCLE_1) | instskip(NEXT) | instid1(SALU_CYCLE_1)
	s_add_nc_u64 s[34:35], s[38:39], s[34:35]
	s_add_co_u32 s2, s30, s34
	s_cselect_b32 s25, -1, 0
	v_mul_hi_u32 v14, v6, s2
	s_cmp_lg_u32 s25, 0
	s_add_co_ci_u32 s38, s31, s35
	s_mov_b64 s[30:31], 0xffffffff
	v_mul_u64_e32 v[10:11], s[38:39], v[6:7]
	s_and_b64 s[30:31], s[2:3], s[30:31]
	v_mul_u64_e32 v[12:13], s[38:39], v[8:9]
	v_mul_u64_e32 v[4:5], s[30:31], v[8:9]
	s_delay_alu instid0(VALU_DEP_3) | instskip(NEXT) | instid1(VALU_DEP_1)
	v_add_nc_u64_e32 v[10:11], v[14:15], v[10:11]
	v_add_co_u32 v3, vcc_lo, v10, v4
	s_delay_alu instid0(VALU_DEP_2) | instskip(SKIP_1) | instid1(VALU_DEP_1)
	v_add_co_ci_u32_e32 v14, vcc_lo, v11, v5, vcc_lo
	v_add_co_ci_u32_e32 v13, vcc_lo, 0, v13, vcc_lo
	v_add_nc_u64_e32 v[4:5], v[14:15], v[12:13]
	s_delay_alu instid0(VALU_DEP_1) | instskip(NEXT) | instid1(VALU_DEP_1)
	v_mul_u64_e32 v[10:11], s[28:29], v[4:5]
	v_sub_nc_u32_e32 v3, v8, v11
	s_delay_alu instid0(VALU_DEP_2) | instskip(NEXT) | instid1(VALU_DEP_1)
	v_sub_co_u32 v6, vcc_lo, v6, v10
	v_sub_co_ci_u32_e64 v10, null, v8, v11, vcc_lo
	s_delay_alu instid0(VALU_DEP_3) | instskip(NEXT) | instid1(VALU_DEP_3)
	v_subrev_co_ci_u32_e64 v3, null, s29, v3, vcc_lo
	v_sub_co_u32 v7, s2, v6, s28
	s_delay_alu instid0(VALU_DEP_1) | instskip(NEXT) | instid1(VALU_DEP_2)
	v_subrev_co_ci_u32_e64 v3, null, 0, v3, s2
	v_cmp_le_u32_e32 vcc_lo, s28, v7
	v_cndmask_b32_e64 v7, 0, -1, vcc_lo
	s_delay_alu instid0(VALU_DEP_3)
	v_cmp_le_u32_e32 vcc_lo, s29, v3
	v_cndmask_b32_e64 v8, 0, -1, vcc_lo
	v_cmp_le_u32_e32 vcc_lo, s28, v6
	v_cndmask_b32_e64 v11, 0, -1, vcc_lo
	v_cmp_le_u32_e32 vcc_lo, s29, v10
	v_cndmask_b32_e64 v12, 0, -1, vcc_lo
	v_cmp_eq_u32_e32 vcc_lo, s29, v3
	v_cndmask_b32_e32 v3, v8, v7, vcc_lo
	v_cmp_eq_u32_e32 vcc_lo, s29, v10
	v_add_nc_u64_e32 v[6:7], 2, v[4:5]
	v_add_nc_u64_e32 v[8:9], 1, v[4:5]
	v_cndmask_b32_e32 v10, v12, v11, vcc_lo
	v_cmp_ne_u32_e32 vcc_lo, 0, v3
	s_delay_alu instid0(VALU_DEP_2) | instskip(NEXT) | instid1(VALU_DEP_4)
	v_cmp_ne_u32_e64 s2, 0, v10
	v_dual_cndmask_b32 v6, v8, v6 :: v_dual_cndmask_b32 v3, v9, v7
	s_delay_alu instid0(VALU_DEP_1) | instskip(NEXT) | instid1(VALU_DEP_1)
	v_dual_cndmask_b32 v4, v4, v6, s2 :: v_dual_cndmask_b32 v5, v5, v3, s2
	v_dual_mov_b32 v3, v2 :: v_dual_bitop2_b32 v4, v4, v2 bitop3:0x14
	s_delay_alu instid0(VALU_DEP_2) | instskip(NEXT) | instid1(VALU_DEP_1)
	v_xor_b32_e32 v5, v5, v2
	v_sub_nc_u64_e32 v[4:5], v[4:5], v[2:3]
.LBB7_3:
	s_and_not1_saveexec_b32 s2, s3
	s_cbranch_execz .LBB7_5
; %bb.4:
	v_cvt_f32_u32_e32 v2, s24
	s_sub_co_i32 s3, 0, s24
	s_delay_alu instid0(VALU_DEP_1) | instskip(SKIP_1) | instid1(TRANS32_DEP_1)
	v_rcp_iflag_f32_e32 v2, v2
	v_nop
	v_mul_f32_e32 v2, 0x4f7ffffe, v2
	s_delay_alu instid0(VALU_DEP_1) | instskip(NEXT) | instid1(VALU_DEP_1)
	v_cvt_u32_f32_e32 v2, v2
	v_mul_lo_u32 v3, s3, v2
	s_delay_alu instid0(VALU_DEP_1) | instskip(NEXT) | instid1(VALU_DEP_1)
	v_mul_hi_u32 v3, v2, v3
	v_add_nc_u32_e32 v2, v2, v3
	s_delay_alu instid0(VALU_DEP_1) | instskip(NEXT) | instid1(VALU_DEP_1)
	v_mul_hi_u32 v2, v0, v2
	v_mul_lo_u32 v3, v2, s24
	s_delay_alu instid0(VALU_DEP_1) | instskip(NEXT) | instid1(VALU_DEP_1)
	v_dual_add_nc_u32 v4, 1, v2 :: v_dual_sub_nc_u32 v3, v0, v3
	v_subrev_nc_u32_e32 v5, s24, v3
	v_cmp_le_u32_e32 vcc_lo, s24, v3
	s_delay_alu instid0(VALU_DEP_2) | instskip(NEXT) | instid1(VALU_DEP_4)
	v_dual_cndmask_b32 v3, v3, v5, vcc_lo :: v_dual_mov_b32 v5, 0
	v_cndmask_b32_e32 v2, v2, v4, vcc_lo
	s_delay_alu instid0(VALU_DEP_2) | instskip(NEXT) | instid1(VALU_DEP_2)
	v_cmp_le_u32_e32 vcc_lo, s24, v3
	v_add_nc_u32_e32 v4, 1, v2
	s_delay_alu instid0(VALU_DEP_1)
	v_cndmask_b32_e32 v4, v2, v4, vcc_lo
.LBB7_5:
	s_or_b32 exec_lo, exec_lo, s2
	s_delay_alu instid0(VALU_DEP_1) | instskip(SKIP_1) | instid1(VALU_DEP_1)
	v_dual_mov_b32 v6, 0 :: v_dual_bitop2_b32 v7, s9, v5 bitop3:0x54
                                        ; implicit-def: $vgpr2_vgpr3
	s_mov_b32 s2, exec_lo
	v_cmpx_ne_u64_e32 0, v[6:7]
	s_xor_b32 s3, exec_lo, s2
	s_cbranch_execz .LBB7_7
; %bb.6:
	s_cvt_f32_u32 s2, s8
	s_cvt_f32_u32 s24, s9
	s_sub_nc_u64 s[26:27], 0, s[8:9]
	s_mov_b32 s31, 0
	v_dual_mov_b32 v2, v4 :: v_dual_mov_b32 v3, v6
	s_fmamk_f32 s2, s24, 0x4f800000, s2
	v_dual_mov_b32 v8, v5 :: v_dual_mov_b32 v9, v6
	v_dual_mov_b32 v13, v6 :: v_dual_mov_b32 v7, v6
	s_delay_alu instid0(SALU_CYCLE_1) | instskip(NEXT) | instid1(TRANS32_DEP_1)
	v_s_rcp_f32 s2, s2
	s_mul_f32 s2, s2, 0x5f7ffffc
	s_delay_alu instid0(SALU_CYCLE_3) | instskip(NEXT) | instid1(SALU_CYCLE_3)
	s_mul_f32 s24, s2, 0x2f800000
	s_trunc_f32 s24, s24
	s_delay_alu instid0(SALU_CYCLE_3) | instskip(SKIP_1) | instid1(SALU_CYCLE_2)
	s_fmamk_f32 s2, s24, 0xcf800000, s2
	s_cvt_u32_f32 s25, s24
	s_cvt_u32_f32 s24, s2
	s_delay_alu instid0(SALU_CYCLE_3) | instskip(NEXT) | instid1(SALU_CYCLE_1)
	s_mul_u64 s[28:29], s[26:27], s[24:25]
	s_mul_hi_u32 s35, s24, s29
	s_mul_i32 s34, s24, s29
	s_mul_hi_u32 s30, s24, s28
	s_mul_i32 s33, s25, s28
	s_add_nc_u64 s[34:35], s[30:31], s[34:35]
	s_mul_hi_u32 s2, s25, s28
	s_mul_hi_u32 s36, s25, s29
	s_mul_i32 s28, s25, s29
	s_add_co_u32 s29, s34, s33
	s_add_co_ci_u32 s30, s35, s2
	s_add_co_ci_u32 s29, s36, 0
	s_delay_alu instid0(SALU_CYCLE_1) | instskip(NEXT) | instid1(SALU_CYCLE_1)
	s_add_nc_u64 s[28:29], s[30:31], s[28:29]
	s_add_co_u32 s24, s24, s28
	s_cselect_b32 s2, -1, 0
	s_delay_alu instid0(SALU_CYCLE_1) | instskip(SKIP_1) | instid1(SALU_CYCLE_1)
	s_cmp_lg_u32 s2, 0
	s_add_co_ci_u32 s25, s25, s29
	s_mul_u64 s[26:27], s[26:27], s[24:25]
	s_delay_alu instid0(SALU_CYCLE_1)
	s_mul_hi_u32 s29, s24, s27
	s_mul_i32 s28, s24, s27
	s_mul_hi_u32 s30, s24, s26
	s_mul_i32 s33, s25, s26
	s_add_nc_u64 s[28:29], s[30:31], s[28:29]
	s_mul_hi_u32 s2, s25, s26
	s_mul_hi_u32 s34, s25, s27
	s_mul_i32 s26, s25, s27
	s_add_co_u32 s27, s28, s33
	s_add_co_ci_u32 s30, s29, s2
	s_add_co_ci_u32 s27, s34, 0
	s_delay_alu instid0(SALU_CYCLE_1) | instskip(NEXT) | instid1(SALU_CYCLE_1)
	s_add_nc_u64 s[26:27], s[30:31], s[26:27]
	s_add_co_u32 s2, s24, s26
	s_cselect_b32 s24, -1, 0
	v_nop
	v_mul_hi_u32 v12, v4, s2
	s_cmp_lg_u32 s24, 0
	s_add_co_ci_u32 s30, s25, s27
	s_mov_b64 s[24:25], 0xffffffff
	v_mul_u64_e32 v[2:3], s[30:31], v[2:3]
	s_and_b64 s[24:25], s[2:3], s[24:25]
	s_delay_alu instid0(SALU_CYCLE_1) | instskip(SKIP_1) | instid1(VALU_DEP_3)
	v_mul_u64_e32 v[10:11], s[24:25], v[8:9]
	v_mul_u64_e32 v[8:9], s[30:31], v[8:9]
	v_add_nc_u64_e32 v[2:3], v[12:13], v[2:3]
	s_delay_alu instid0(VALU_DEP_1) | instskip(NEXT) | instid1(VALU_DEP_2)
	v_add_co_u32 v2, vcc_lo, v2, v10
	v_add_co_ci_u32_e32 v6, vcc_lo, v3, v11, vcc_lo
	s_delay_alu instid0(VALU_DEP_4) | instskip(NEXT) | instid1(VALU_DEP_1)
	v_add_co_ci_u32_e32 v9, vcc_lo, 0, v9, vcc_lo
	v_add_nc_u64_e32 v[2:3], v[6:7], v[8:9]
	s_delay_alu instid0(VALU_DEP_1) | instskip(NEXT) | instid1(VALU_DEP_1)
	v_mul_u64_e32 v[2:3], s[8:9], v[2:3]
	v_sub_nc_u32_e32 v6, v5, v3
	s_delay_alu instid0(VALU_DEP_2) | instskip(NEXT) | instid1(VALU_DEP_1)
	v_sub_co_u32 v2, vcc_lo, v4, v2
	v_sub_co_ci_u32_e64 v3, null, v5, v3, vcc_lo
	s_delay_alu instid0(VALU_DEP_3) | instskip(NEXT) | instid1(VALU_DEP_3)
	v_subrev_co_ci_u32_e64 v4, null, s9, v6, vcc_lo
	v_sub_co_u32 v5, vcc_lo, v2, s8
	v_cmp_le_u32_e64 s2, s8, v2
	s_delay_alu instid0(VALU_DEP_3) | instskip(SKIP_1) | instid1(VALU_DEP_3)
	v_subrev_co_ci_u32_e64 v6, null, 0, v4, vcc_lo
	v_subrev_co_ci_u32_e64 v4, null, s9, v4, vcc_lo
	v_cndmask_b32_e64 v7, 0, -1, s2
	v_cmp_le_u32_e64 s2, s8, v5
	v_cmp_le_u32_e32 vcc_lo, s9, v3
	s_delay_alu instid0(VALU_DEP_2) | instskip(SKIP_3) | instid1(VALU_DEP_3)
	v_cndmask_b32_e64 v8, 0, -1, s2
	v_cmp_le_u32_e64 s2, s9, v6
	v_cndmask_b32_e64 v10, 0, -1, vcc_lo
	v_cmp_eq_u32_e32 vcc_lo, s9, v6
	v_cndmask_b32_e64 v9, 0, -1, s2
	s_delay_alu instid0(VALU_DEP_1) | instskip(SKIP_1) | instid1(VALU_DEP_1)
	v_cndmask_b32_e32 v6, v9, v8, vcc_lo
	v_sub_co_u32 v8, vcc_lo, v5, s8
	v_subrev_co_ci_u32_e64 v4, null, 0, v4, vcc_lo
	v_cmp_eq_u32_e32 vcc_lo, s9, v3
	v_cndmask_b32_e32 v3, v10, v7, vcc_lo
	v_cmp_ne_u32_e32 vcc_lo, 0, v6
	v_cndmask_b32_e32 v4, v5, v8, vcc_lo
	s_delay_alu instid0(VALU_DEP_3) | instskip(NEXT) | instid1(VALU_DEP_2)
	v_cmp_ne_u32_e32 vcc_lo, 0, v3
	v_cndmask_b32_e32 v2, v2, v4, vcc_lo
                                        ; implicit-def: $vgpr4_vgpr5
.LBB7_7:
	s_and_not1_saveexec_b32 s2, s3
	s_cbranch_execz .LBB7_9
; %bb.8:
	v_cvt_f32_u32_e32 v2, s8
	s_sub_co_i32 s3, 0, s8
	s_delay_alu instid0(VALU_DEP_1) | instskip(SKIP_1) | instid1(TRANS32_DEP_1)
	v_rcp_iflag_f32_e32 v2, v2
	v_nop
	v_mul_f32_e32 v2, 0x4f7ffffe, v2
	s_delay_alu instid0(VALU_DEP_1) | instskip(NEXT) | instid1(VALU_DEP_1)
	v_cvt_u32_f32_e32 v2, v2
	v_mul_lo_u32 v3, s3, v2
	s_delay_alu instid0(VALU_DEP_1) | instskip(NEXT) | instid1(VALU_DEP_1)
	v_mul_hi_u32 v3, v2, v3
	v_add_nc_u32_e32 v2, v2, v3
	s_delay_alu instid0(VALU_DEP_1) | instskip(NEXT) | instid1(VALU_DEP_1)
	v_mul_hi_u32 v2, v4, v2
	v_mul_lo_u32 v2, v2, s8
	s_delay_alu instid0(VALU_DEP_1) | instskip(NEXT) | instid1(VALU_DEP_1)
	v_sub_nc_u32_e32 v2, v4, v2
	v_subrev_nc_u32_e32 v3, s8, v2
	v_cmp_le_u32_e32 vcc_lo, s8, v2
	s_delay_alu instid0(VALU_DEP_2) | instskip(NEXT) | instid1(VALU_DEP_1)
	v_cndmask_b32_e32 v2, v2, v3, vcc_lo
	v_subrev_nc_u32_e32 v3, s8, v2
	v_cmp_le_u32_e32 vcc_lo, s8, v2
	s_delay_alu instid0(VALU_DEP_2)
	v_cndmask_b32_e32 v2, v2, v3, vcc_lo
.LBB7_9:
	s_or_b32 exec_lo, exec_lo, s2
	v_dual_mov_b32 v6, 0 :: v_dual_bitop2_b32 v7, s21, v1 bitop3:0x54
	s_cvt_f32_u32 s29, s20
	s_cvt_f32_u32 s30, s21
	s_sub_nc_u64 s[26:27], 0, s[20:21]
                                        ; implicit-def: $vgpr4_vgpr5
	s_mov_b32 s2, exec_lo
	v_cmpx_ne_u64_e32 0, v[6:7]
	s_xor_b32 s3, exec_lo, s2
	s_cbranch_execz .LBB7_11
; %bb.10:
	s_fmamk_f32 s2, s30, 0x4f800000, s29
	s_mov_b32 s37, 0
	v_dual_mov_b32 v4, v0 :: v_dual_mov_b32 v5, v6
	s_delay_alu instid0(SALU_CYCLE_1) | instskip(SKIP_2) | instid1(TRANS32_DEP_1)
	v_s_rcp_f32 s2, s2
	v_dual_mov_b32 v8, v1 :: v_dual_mov_b32 v9, v6
	v_dual_mov_b32 v13, v6 :: v_dual_mov_b32 v7, v6
	s_mul_f32 s2, s2, 0x5f7ffffc
	s_delay_alu instid0(SALU_CYCLE_3) | instskip(NEXT) | instid1(SALU_CYCLE_3)
	s_mul_f32 s24, s2, 0x2f800000
	s_trunc_f32 s24, s24
	s_delay_alu instid0(SALU_CYCLE_3) | instskip(SKIP_1) | instid1(SALU_CYCLE_2)
	s_fmamk_f32 s2, s24, 0xcf800000, s2
	s_cvt_u32_f32 s25, s24
	s_cvt_u32_f32 s24, s2
	s_delay_alu instid0(SALU_CYCLE_3) | instskip(NEXT) | instid1(SALU_CYCLE_1)
	s_mul_u64 s[34:35], s[26:27], s[24:25]
	s_mul_hi_u32 s39, s24, s35
	s_mul_i32 s38, s24, s35
	s_mul_hi_u32 s36, s24, s34
	s_mul_i32 s28, s25, s34
	s_add_nc_u64 s[38:39], s[36:37], s[38:39]
	s_mul_hi_u32 s2, s25, s34
	s_mul_hi_u32 s31, s25, s35
	s_add_co_u32 s28, s38, s28
	s_add_co_ci_u32 s36, s39, s2
	s_mul_i32 s34, s25, s35
	s_add_co_ci_u32 s35, s31, 0
	s_delay_alu instid0(SALU_CYCLE_1) | instskip(NEXT) | instid1(SALU_CYCLE_1)
	s_add_nc_u64 s[34:35], s[36:37], s[34:35]
	s_add_co_u32 s24, s24, s34
	s_cselect_b32 s2, -1, 0
	s_delay_alu instid0(SALU_CYCLE_1) | instskip(SKIP_1) | instid1(SALU_CYCLE_1)
	s_cmp_lg_u32 s2, 0
	s_add_co_ci_u32 s25, s25, s35
	s_mul_u64 s[34:35], s[26:27], s[24:25]
	s_delay_alu instid0(SALU_CYCLE_1)
	s_mul_hi_u32 s39, s24, s35
	s_mul_i32 s38, s24, s35
	s_mul_hi_u32 s36, s24, s34
	s_mul_i32 s28, s25, s34
	s_add_nc_u64 s[38:39], s[36:37], s[38:39]
	s_mul_hi_u32 s2, s25, s34
	s_mul_hi_u32 s31, s25, s35
	s_add_co_u32 s28, s38, s28
	s_add_co_ci_u32 s36, s39, s2
	s_mul_i32 s34, s25, s35
	s_add_co_ci_u32 s35, s31, 0
	s_delay_alu instid0(SALU_CYCLE_1) | instskip(NEXT) | instid1(SALU_CYCLE_1)
	s_add_nc_u64 s[34:35], s[36:37], s[34:35]
	s_add_co_u32 s2, s24, s34
	s_cselect_b32 s24, -1, 0
	v_mul_hi_u32 v12, v0, s2
	s_cmp_lg_u32 s24, 0
	s_add_co_ci_u32 s36, s25, s35
	s_mov_b64 s[24:25], 0xffffffff
	v_mul_u64_e32 v[4:5], s[36:37], v[4:5]
	s_and_b64 s[24:25], s[2:3], s[24:25]
	s_delay_alu instid0(SALU_CYCLE_1) | instskip(SKIP_1) | instid1(VALU_DEP_3)
	v_mul_u64_e32 v[10:11], s[24:25], v[8:9]
	v_mul_u64_e32 v[8:9], s[36:37], v[8:9]
	v_add_nc_u64_e32 v[4:5], v[12:13], v[4:5]
	s_delay_alu instid0(VALU_DEP_1) | instskip(NEXT) | instid1(VALU_DEP_2)
	v_add_co_u32 v3, vcc_lo, v4, v10
	v_add_co_ci_u32_e32 v6, vcc_lo, v5, v11, vcc_lo
	s_delay_alu instid0(VALU_DEP_4) | instskip(NEXT) | instid1(VALU_DEP_1)
	v_add_co_ci_u32_e32 v9, vcc_lo, 0, v9, vcc_lo
	v_add_nc_u64_e32 v[4:5], v[6:7], v[8:9]
	s_delay_alu instid0(VALU_DEP_1) | instskip(SKIP_1) | instid1(VALU_DEP_2)
	v_mul_u64_e32 v[6:7], s[20:21], v[4:5]
	v_add_nc_u64_e32 v[8:9], 2, v[4:5]
	v_sub_nc_u32_e32 v3, v1, v7
	s_delay_alu instid0(VALU_DEP_3) | instskip(NEXT) | instid1(VALU_DEP_1)
	v_sub_co_u32 v6, vcc_lo, v0, v6
	v_sub_co_ci_u32_e64 v12, null, v1, v7, vcc_lo
	s_delay_alu instid0(VALU_DEP_3) | instskip(NEXT) | instid1(VALU_DEP_3)
	v_subrev_co_ci_u32_e64 v3, null, s21, v3, vcc_lo
	v_sub_co_u32 v10, s2, v6, s20
	v_cmp_le_u32_e32 vcc_lo, s20, v6
	s_delay_alu instid0(VALU_DEP_3) | instskip(NEXT) | instid1(VALU_DEP_3)
	v_subrev_co_ci_u32_e64 v3, null, 0, v3, s2
	v_cmp_le_u32_e64 s2, s20, v10
	v_add_nc_u64_e32 v[6:7], 1, v[4:5]
	v_cndmask_b32_e64 v13, 0, -1, vcc_lo
	s_delay_alu instid0(VALU_DEP_4) | instskip(NEXT) | instid1(VALU_DEP_4)
	v_cmp_eq_u32_e32 vcc_lo, s21, v3
	v_cndmask_b32_e64 v10, 0, -1, s2
	v_cmp_le_u32_e64 s2, s21, v3
	s_delay_alu instid0(VALU_DEP_1) | instskip(SKIP_1) | instid1(VALU_DEP_2)
	v_cndmask_b32_e64 v11, 0, -1, s2
	v_cmp_eq_u32_e64 s2, s21, v12
	v_cndmask_b32_e32 v3, v11, v10, vcc_lo
	v_cmp_le_u32_e32 vcc_lo, s21, v12
	v_cndmask_b32_e64 v10, 0, -1, vcc_lo
	s_delay_alu instid0(VALU_DEP_3) | instskip(SKIP_1) | instid1(VALU_DEP_3)
	v_cmp_ne_u32_e32 vcc_lo, 0, v3
	v_cndmask_b32_e32 v7, v7, v9, vcc_lo
	v_cndmask_b32_e64 v3, v10, v13, s2
	v_cndmask_b32_e32 v6, v6, v8, vcc_lo
	s_delay_alu instid0(VALU_DEP_2) | instskip(NEXT) | instid1(VALU_DEP_2)
	v_cmp_ne_u32_e32 vcc_lo, 0, v3
	v_dual_cndmask_b32 v5, v5, v7 :: v_dual_cndmask_b32 v4, v4, v6
.LBB7_11:
	s_or_saveexec_b32 s2, s3
	v_cvt_f32_u32_e32 v12, s20
	s_xor_b32 exec_lo, exec_lo, s2
	s_cbranch_execz .LBB7_13
; %bb.12:
	s_delay_alu instid0(VALU_DEP_1) | instskip(SKIP_2) | instid1(TRANS32_DEP_1)
	v_rcp_iflag_f32_e32 v3, v12
	s_sub_co_i32 s3, 0, s20
	v_nop
	v_mul_f32_e32 v3, 0x4f7ffffe, v3
	s_delay_alu instid0(VALU_DEP_1) | instskip(NEXT) | instid1(VALU_DEP_1)
	v_cvt_u32_f32_e32 v3, v3
	v_mul_lo_u32 v4, s3, v3
	s_delay_alu instid0(VALU_DEP_1) | instskip(NEXT) | instid1(VALU_DEP_1)
	v_mul_hi_u32 v4, v3, v4
	v_add_nc_u32_e32 v3, v3, v4
	s_delay_alu instid0(VALU_DEP_1) | instskip(NEXT) | instid1(VALU_DEP_1)
	v_mul_hi_u32 v3, v0, v3
	v_mul_lo_u32 v4, v3, s20
	s_delay_alu instid0(VALU_DEP_1) | instskip(NEXT) | instid1(VALU_DEP_1)
	v_dual_add_nc_u32 v5, 1, v3 :: v_dual_sub_nc_u32 v4, v0, v4
	v_subrev_nc_u32_e32 v6, s20, v4
	v_cmp_le_u32_e32 vcc_lo, s20, v4
	s_delay_alu instid0(VALU_DEP_2) | instskip(NEXT) | instid1(VALU_DEP_1)
	v_dual_cndmask_b32 v4, v4, v6 :: v_dual_cndmask_b32 v3, v3, v5
	v_cmp_le_u32_e32 vcc_lo, s20, v4
	s_delay_alu instid0(VALU_DEP_2) | instskip(NEXT) | instid1(VALU_DEP_1)
	v_add_nc_u32_e32 v5, 1, v3
	v_dual_cndmask_b32 v4, v3, v5 :: v_dual_mov_b32 v5, 0
.LBB7_13:
	s_or_b32 exec_lo, exec_lo, s2
	v_dual_mov_b32 v8, 0 :: v_dual_bitop2_b32 v9, s19, v1 bitop3:0x54
	s_cvt_f32_u32 s3, s18
	s_cvt_f32_u32 s28, s19
	s_sub_nc_u64 s[24:25], 0, s[18:19]
                                        ; implicit-def: $vgpr6_vgpr7
	s_mov_b32 s2, exec_lo
	v_cmpx_ne_u64_e32 0, v[8:9]
	s_xor_b32 s31, exec_lo, s2
	s_cbranch_execz .LBB7_15
; %bb.14:
	s_fmamk_f32 s2, s28, 0x4f800000, s3
	s_mov_b32 s39, 0
	v_dual_mov_b32 v6, v0 :: v_dual_mov_b32 v7, v8
	s_delay_alu instid0(SALU_CYCLE_1) | instskip(SKIP_2) | instid1(TRANS32_DEP_1)
	v_s_rcp_f32 s2, s2
	v_dual_mov_b32 v10, v1 :: v_dual_mov_b32 v11, v8
	v_dual_mov_b32 v17, v8 :: v_dual_mov_b32 v9, v8
	s_mul_f32 s2, s2, 0x5f7ffffc
	s_delay_alu instid0(SALU_CYCLE_3) | instskip(NEXT) | instid1(SALU_CYCLE_3)
	s_mul_f32 s33, s2, 0x2f800000
	s_trunc_f32 s33, s33
	s_delay_alu instid0(SALU_CYCLE_3) | instskip(SKIP_1) | instid1(SALU_CYCLE_2)
	s_fmamk_f32 s2, s33, 0xcf800000, s2
	s_cvt_u32_f32 s35, s33
	s_cvt_u32_f32 s34, s2
	s_delay_alu instid0(SALU_CYCLE_3) | instskip(NEXT) | instid1(SALU_CYCLE_1)
	s_mul_u64 s[36:37], s[24:25], s[34:35]
	s_mul_hi_u32 s41, s34, s37
	s_mul_i32 s40, s34, s37
	s_mul_hi_u32 s38, s34, s36
	s_mul_i32 s33, s35, s36
	s_add_nc_u64 s[40:41], s[38:39], s[40:41]
	s_mul_hi_u32 s2, s35, s36
	s_mul_hi_u32 s42, s35, s37
	s_add_co_u32 s33, s40, s33
	s_add_co_ci_u32 s38, s41, s2
	s_mul_i32 s36, s35, s37
	s_add_co_ci_u32 s37, s42, 0
	s_delay_alu instid0(SALU_CYCLE_1) | instskip(NEXT) | instid1(SALU_CYCLE_1)
	s_add_nc_u64 s[36:37], s[38:39], s[36:37]
	s_add_co_u32 s34, s34, s36
	s_cselect_b32 s2, -1, 0
	s_delay_alu instid0(SALU_CYCLE_1) | instskip(SKIP_1) | instid1(SALU_CYCLE_1)
	s_cmp_lg_u32 s2, 0
	s_add_co_ci_u32 s35, s35, s37
	s_mul_u64 s[36:37], s[24:25], s[34:35]
	s_delay_alu instid0(SALU_CYCLE_1)
	s_mul_hi_u32 s41, s34, s37
	s_mul_i32 s40, s34, s37
	s_mul_hi_u32 s38, s34, s36
	s_mul_i32 s33, s35, s36
	s_add_nc_u64 s[40:41], s[38:39], s[40:41]
	s_mul_hi_u32 s2, s35, s36
	s_mul_hi_u32 s42, s35, s37
	s_add_co_u32 s33, s40, s33
	s_add_co_ci_u32 s38, s41, s2
	s_mul_i32 s36, s35, s37
	s_add_co_ci_u32 s37, s42, 0
	s_delay_alu instid0(SALU_CYCLE_1) | instskip(NEXT) | instid1(SALU_CYCLE_1)
	s_add_nc_u64 s[36:37], s[38:39], s[36:37]
	s_add_co_u32 s2, s34, s36
	s_cselect_b32 s33, -1, 0
	v_mul_hi_u32 v16, v0, s2
	s_cmp_lg_u32 s33, 0
	s_add_co_ci_u32 s38, s35, s37
	s_mov_b64 s[34:35], 0xffffffff
	v_mul_u64_e32 v[6:7], s[38:39], v[6:7]
	s_and_b64 s[34:35], s[2:3], s[34:35]
	s_delay_alu instid0(SALU_CYCLE_1) | instskip(SKIP_1) | instid1(VALU_DEP_3)
	v_mul_u64_e32 v[14:15], s[34:35], v[10:11]
	v_mul_u64_e32 v[10:11], s[38:39], v[10:11]
	v_add_nc_u64_e32 v[6:7], v[16:17], v[6:7]
	s_delay_alu instid0(VALU_DEP_1) | instskip(NEXT) | instid1(VALU_DEP_2)
	v_add_co_u32 v3, vcc_lo, v6, v14
	v_add_co_ci_u32_e32 v8, vcc_lo, v7, v15, vcc_lo
	s_delay_alu instid0(VALU_DEP_4) | instskip(NEXT) | instid1(VALU_DEP_1)
	v_add_co_ci_u32_e32 v11, vcc_lo, 0, v11, vcc_lo
	v_add_nc_u64_e32 v[6:7], v[8:9], v[10:11]
	s_delay_alu instid0(VALU_DEP_1) | instskip(SKIP_1) | instid1(VALU_DEP_2)
	v_mul_u64_e32 v[8:9], s[18:19], v[6:7]
	v_add_nc_u64_e32 v[10:11], 2, v[6:7]
	v_sub_nc_u32_e32 v3, v1, v9
	s_delay_alu instid0(VALU_DEP_3) | instskip(NEXT) | instid1(VALU_DEP_1)
	v_sub_co_u32 v8, vcc_lo, v0, v8
	v_sub_co_ci_u32_e64 v15, null, v1, v9, vcc_lo
	s_delay_alu instid0(VALU_DEP_3) | instskip(NEXT) | instid1(VALU_DEP_3)
	v_subrev_co_ci_u32_e64 v3, null, s19, v3, vcc_lo
	v_sub_co_u32 v13, s2, v8, s18
	v_cmp_le_u32_e32 vcc_lo, s18, v8
	s_delay_alu instid0(VALU_DEP_3) | instskip(NEXT) | instid1(VALU_DEP_3)
	v_subrev_co_ci_u32_e64 v3, null, 0, v3, s2
	v_cmp_le_u32_e64 s2, s18, v13
	v_add_nc_u64_e32 v[8:9], 1, v[6:7]
	v_cndmask_b32_e64 v16, 0, -1, vcc_lo
	s_delay_alu instid0(VALU_DEP_4) | instskip(NEXT) | instid1(VALU_DEP_4)
	v_cmp_eq_u32_e32 vcc_lo, s19, v3
	v_cndmask_b32_e64 v13, 0, -1, s2
	v_cmp_le_u32_e64 s2, s19, v3
	s_delay_alu instid0(VALU_DEP_1) | instskip(SKIP_1) | instid1(VALU_DEP_2)
	v_cndmask_b32_e64 v14, 0, -1, s2
	v_cmp_eq_u32_e64 s2, s19, v15
	v_cndmask_b32_e32 v3, v14, v13, vcc_lo
	v_cmp_le_u32_e32 vcc_lo, s19, v15
	v_cndmask_b32_e64 v13, 0, -1, vcc_lo
	s_delay_alu instid0(VALU_DEP_3) | instskip(SKIP_1) | instid1(VALU_DEP_3)
	v_cmp_ne_u32_e32 vcc_lo, 0, v3
	v_cndmask_b32_e32 v9, v9, v11, vcc_lo
	v_dual_cndmask_b32 v3, v13, v16, s2 :: v_dual_cndmask_b32 v8, v8, v10, vcc_lo
	s_delay_alu instid0(VALU_DEP_1) | instskip(NEXT) | instid1(VALU_DEP_2)
	v_cmp_ne_u32_e32 vcc_lo, 0, v3
	v_dual_cndmask_b32 v7, v7, v9 :: v_dual_cndmask_b32 v6, v6, v8
.LBB7_15:
	s_or_saveexec_b32 s2, s31
	v_cvt_f32_u32_e32 v3, s18
	s_xor_b32 exec_lo, exec_lo, s2
	s_cbranch_execz .LBB7_17
; %bb.16:
	s_delay_alu instid0(VALU_DEP_1) | instskip(SKIP_2) | instid1(TRANS32_DEP_1)
	v_rcp_iflag_f32_e32 v6, v3
	s_sub_co_i32 s31, 0, s18
	v_nop
	v_mul_f32_e32 v6, 0x4f7ffffe, v6
	s_delay_alu instid0(VALU_DEP_1) | instskip(NEXT) | instid1(VALU_DEP_1)
	v_cvt_u32_f32_e32 v6, v6
	v_mul_lo_u32 v7, s31, v6
	s_delay_alu instid0(VALU_DEP_1) | instskip(NEXT) | instid1(VALU_DEP_1)
	v_mul_hi_u32 v7, v6, v7
	v_add_nc_u32_e32 v6, v6, v7
	s_delay_alu instid0(VALU_DEP_1) | instskip(NEXT) | instid1(VALU_DEP_1)
	v_mul_hi_u32 v6, v0, v6
	v_mul_lo_u32 v7, v6, s18
	s_delay_alu instid0(VALU_DEP_1) | instskip(NEXT) | instid1(VALU_DEP_1)
	v_dual_add_nc_u32 v8, 1, v6 :: v_dual_sub_nc_u32 v7, v0, v7
	v_subrev_nc_u32_e32 v9, s18, v7
	v_cmp_le_u32_e32 vcc_lo, s18, v7
	s_delay_alu instid0(VALU_DEP_2) | instskip(NEXT) | instid1(VALU_DEP_1)
	v_dual_cndmask_b32 v7, v7, v9 :: v_dual_cndmask_b32 v6, v6, v8
	v_cmp_le_u32_e32 vcc_lo, s18, v7
	s_delay_alu instid0(VALU_DEP_2) | instskip(NEXT) | instid1(VALU_DEP_1)
	v_dual_mov_b32 v7, 0 :: v_dual_add_nc_u32 v8, 1, v6
	v_cndmask_b32_e32 v6, v6, v8, vcc_lo
.LBB7_17:
	s_or_b32 exec_lo, exec_lo, s2
	s_delay_alu instid0(VALU_DEP_2) | instskip(SKIP_1) | instid1(VALU_DEP_1)
	v_dual_mov_b32 v10, 0 :: v_dual_bitop2_b32 v11, s21, v7 bitop3:0x54
                                        ; implicit-def: $vgpr8_vgpr9
	s_mov_b32 s2, exec_lo
	v_cmpx_ne_u64_e32 0, v[10:11]
	s_xor_b32 s31, exec_lo, s2
	s_cbranch_execz .LBB7_19
; %bb.18:
	s_fmamk_f32 s2, s30, 0x4f800000, s29
	s_mov_b32 s39, 0
	v_dual_mov_b32 v8, v6 :: v_dual_mov_b32 v9, v10
	s_delay_alu instid0(SALU_CYCLE_1) | instskip(SKIP_2) | instid1(TRANS32_DEP_1)
	v_s_rcp_f32 s2, s2
	v_dual_mov_b32 v12, v7 :: v_dual_mov_b32 v13, v10
	v_dual_mov_b32 v17, v10 :: v_dual_mov_b32 v11, v10
	s_mul_f32 s2, s2, 0x5f7ffffc
	s_delay_alu instid0(SALU_CYCLE_3) | instskip(NEXT) | instid1(SALU_CYCLE_3)
	s_mul_f32 s29, s2, 0x2f800000
	s_trunc_f32 s29, s29
	s_delay_alu instid0(SALU_CYCLE_3) | instskip(SKIP_1) | instid1(SALU_CYCLE_2)
	s_fmamk_f32 s2, s29, 0xcf800000, s2
	s_cvt_u32_f32 s35, s29
	s_cvt_u32_f32 s34, s2
	s_delay_alu instid0(SALU_CYCLE_3) | instskip(NEXT) | instid1(SALU_CYCLE_1)
	s_mul_u64 s[36:37], s[26:27], s[34:35]
	s_mul_hi_u32 s41, s34, s37
	s_mul_i32 s40, s34, s37
	s_mul_hi_u32 s38, s34, s36
	s_mul_i32 s29, s35, s36
	s_add_nc_u64 s[40:41], s[38:39], s[40:41]
	s_mul_hi_u32 s2, s35, s36
	s_mul_hi_u32 s30, s35, s37
	s_add_co_u32 s29, s40, s29
	s_add_co_ci_u32 s38, s41, s2
	s_mul_i32 s36, s35, s37
	s_add_co_ci_u32 s37, s30, 0
	s_delay_alu instid0(SALU_CYCLE_1) | instskip(NEXT) | instid1(SALU_CYCLE_1)
	s_add_nc_u64 s[36:37], s[38:39], s[36:37]
	s_add_co_u32 s34, s34, s36
	s_cselect_b32 s2, -1, 0
	s_delay_alu instid0(SALU_CYCLE_1) | instskip(SKIP_1) | instid1(SALU_CYCLE_1)
	s_cmp_lg_u32 s2, 0
	s_add_co_ci_u32 s35, s35, s37
	s_mul_u64 s[26:27], s[26:27], s[34:35]
	s_delay_alu instid0(SALU_CYCLE_1)
	s_mul_hi_u32 s37, s34, s27
	s_mul_i32 s36, s34, s27
	s_mul_hi_u32 s38, s34, s26
	s_mul_i32 s29, s35, s26
	s_add_nc_u64 s[36:37], s[38:39], s[36:37]
	s_mul_hi_u32 s2, s35, s26
	s_mul_hi_u32 s30, s35, s27
	s_mul_i32 s26, s35, s27
	s_add_co_u32 s27, s36, s29
	s_add_co_ci_u32 s38, s37, s2
	s_add_co_ci_u32 s27, s30, 0
	s_delay_alu instid0(SALU_CYCLE_1) | instskip(NEXT) | instid1(SALU_CYCLE_1)
	s_add_nc_u64 s[26:27], s[38:39], s[26:27]
	s_add_co_u32 s2, s34, s26
	s_cselect_b32 s26, -1, 0
	v_mul_hi_u32 v16, v6, s2
	s_cmp_lg_u32 s26, 0
	s_add_co_ci_u32 s38, s35, s27
	s_mov_b64 s[26:27], 0xffffffff
	v_mul_u64_e32 v[8:9], s[38:39], v[8:9]
	s_and_b64 s[26:27], s[2:3], s[26:27]
	s_delay_alu instid0(SALU_CYCLE_1) | instskip(SKIP_1) | instid1(VALU_DEP_3)
	v_mul_u64_e32 v[14:15], s[26:27], v[12:13]
	v_mul_u64_e32 v[12:13], s[38:39], v[12:13]
	v_add_nc_u64_e32 v[8:9], v[16:17], v[8:9]
	s_delay_alu instid0(VALU_DEP_1) | instskip(NEXT) | instid1(VALU_DEP_2)
	v_add_co_u32 v8, vcc_lo, v8, v14
	v_add_co_ci_u32_e32 v10, vcc_lo, v9, v15, vcc_lo
	s_delay_alu instid0(VALU_DEP_4) | instskip(NEXT) | instid1(VALU_DEP_1)
	v_add_co_ci_u32_e32 v13, vcc_lo, 0, v13, vcc_lo
	v_add_nc_u64_e32 v[8:9], v[10:11], v[12:13]
	s_delay_alu instid0(VALU_DEP_1) | instskip(NEXT) | instid1(VALU_DEP_1)
	v_mul_u64_e32 v[10:11], s[20:21], v[8:9]
	v_sub_nc_u32_e32 v12, v7, v11
	s_delay_alu instid0(VALU_DEP_2) | instskip(NEXT) | instid1(VALU_DEP_1)
	v_sub_co_u32 v6, vcc_lo, v6, v10
	v_sub_co_ci_u32_e64 v11, null, v7, v11, vcc_lo
	s_delay_alu instid0(VALU_DEP_3) | instskip(NEXT) | instid1(VALU_DEP_3)
	v_subrev_co_ci_u32_e64 v10, null, s21, v12, vcc_lo
	v_sub_co_u32 v14, s2, v6, s20
	v_cmp_le_u32_e32 vcc_lo, s20, v6
	s_delay_alu instid0(VALU_DEP_3) | instskip(NEXT) | instid1(VALU_DEP_3)
	v_subrev_co_ci_u32_e64 v10, null, 0, v10, s2
	v_cmp_le_u32_e64 s2, s20, v14
	v_add_nc_u64_e32 v[12:13], 2, v[8:9]
	v_cndmask_b32_e64 v16, 0, -1, vcc_lo
	s_delay_alu instid0(VALU_DEP_4) | instskip(SKIP_3) | instid1(VALU_DEP_1)
	v_cmp_eq_u32_e32 vcc_lo, s21, v10
	v_add_nc_u64_e32 v[6:7], 1, v[8:9]
	v_cndmask_b32_e64 v14, 0, -1, s2
	v_cmp_le_u32_e64 s2, s21, v10
	v_cndmask_b32_e64 v15, 0, -1, s2
	v_cmp_eq_u32_e64 s2, s21, v11
	s_delay_alu instid0(VALU_DEP_2) | instskip(SKIP_2) | instid1(VALU_DEP_3)
	v_cndmask_b32_e32 v10, v15, v14, vcc_lo
	v_cmp_le_u32_e32 vcc_lo, s21, v11
	v_cndmask_b32_e64 v14, 0, -1, vcc_lo
	v_cmp_ne_u32_e32 vcc_lo, 0, v10
	s_delay_alu instid0(VALU_DEP_2) | instskip(SKIP_1) | instid1(VALU_DEP_2)
	v_cndmask_b32_e64 v10, v14, v16, s2
	v_dual_cndmask_b32 v6, v6, v12 :: v_dual_cndmask_b32 v7, v7, v13
                                        ; implicit-def: $vgpr12
	v_cmp_ne_u32_e32 vcc_lo, 0, v10
	s_delay_alu instid0(VALU_DEP_2)
	v_dual_cndmask_b32 v8, v8, v6 :: v_dual_cndmask_b32 v9, v9, v7
                                        ; implicit-def: $vgpr6_vgpr7
.LBB7_19:
	s_and_not1_saveexec_b32 s2, s31
	s_cbranch_execz .LBB7_21
; %bb.20:
	v_rcp_iflag_f32_e32 v7, v12
	s_sub_co_i32 s26, 0, s20
	v_nop
	s_delay_alu instid0(TRANS32_DEP_1) | instskip(NEXT) | instid1(VALU_DEP_1)
	v_mul_f32_e32 v7, 0x4f7ffffe, v7
	v_cvt_u32_f32_e32 v7, v7
	s_delay_alu instid0(VALU_DEP_1) | instskip(NEXT) | instid1(VALU_DEP_1)
	v_mul_lo_u32 v8, s26, v7
	v_mul_hi_u32 v8, v7, v8
	s_delay_alu instid0(VALU_DEP_1) | instskip(NEXT) | instid1(VALU_DEP_1)
	v_add_nc_u32_e32 v7, v7, v8
	v_mul_hi_u32 v7, v6, v7
	s_delay_alu instid0(VALU_DEP_1) | instskip(NEXT) | instid1(VALU_DEP_1)
	v_mul_lo_u32 v8, v7, s20
	v_dual_sub_nc_u32 v6, v6, v8 :: v_dual_add_nc_u32 v8, 1, v7
	s_delay_alu instid0(VALU_DEP_1) | instskip(SKIP_1) | instid1(VALU_DEP_2)
	v_subrev_nc_u32_e32 v9, s20, v6
	v_cmp_le_u32_e32 vcc_lo, s20, v6
	v_dual_cndmask_b32 v6, v6, v9 :: v_dual_mov_b32 v9, 0
	s_delay_alu instid0(VALU_DEP_4) | instskip(NEXT) | instid1(VALU_DEP_2)
	v_cndmask_b32_e32 v7, v7, v8, vcc_lo
	v_cmp_le_u32_e32 vcc_lo, s20, v6
	s_delay_alu instid0(VALU_DEP_2) | instskip(NEXT) | instid1(VALU_DEP_1)
	v_add_nc_u32_e32 v8, 1, v7
	v_cndmask_b32_e32 v8, v7, v8, vcc_lo
.LBB7_21:
	s_or_b32 exec_lo, exec_lo, s2
	s_delay_alu instid0(VALU_DEP_1) | instskip(SKIP_1) | instid1(VALU_DEP_1)
	v_dual_mov_b32 v10, 0 :: v_dual_bitop2_b32 v11, s17, v9 bitop3:0x54
                                        ; implicit-def: $vgpr6_vgpr7
	s_mov_b32 s2, exec_lo
	v_cmpx_ne_u64_e32 0, v[10:11]
	s_xor_b32 s26, exec_lo, s2
	s_cbranch_execz .LBB7_23
; %bb.22:
	s_cvt_f32_u32 s2, s16
	s_cvt_f32_u32 s27, s17
	s_sub_nc_u64 s[34:35], 0, s[16:17]
	s_mov_b32 s39, 0
	v_dual_mov_b32 v6, v8 :: v_dual_mov_b32 v7, v10
	s_fmamk_f32 s2, s27, 0x4f800000, s2
	v_dual_mov_b32 v12, v9 :: v_dual_mov_b32 v13, v10
	v_dual_mov_b32 v17, v10 :: v_dual_mov_b32 v11, v10
	s_delay_alu instid0(SALU_CYCLE_1) | instskip(NEXT) | instid1(TRANS32_DEP_1)
	v_s_rcp_f32 s2, s2
	s_mul_f32 s2, s2, 0x5f7ffffc
	s_delay_alu instid0(SALU_CYCLE_3) | instskip(NEXT) | instid1(SALU_CYCLE_3)
	s_mul_f32 s27, s2, 0x2f800000
	s_trunc_f32 s27, s27
	s_delay_alu instid0(SALU_CYCLE_3) | instskip(SKIP_1) | instid1(SALU_CYCLE_2)
	s_fmamk_f32 s2, s27, 0xcf800000, s2
	s_cvt_u32_f32 s31, s27
	s_cvt_u32_f32 s30, s2
	s_delay_alu instid0(SALU_CYCLE_3) | instskip(NEXT) | instid1(SALU_CYCLE_1)
	s_mul_u64 s[36:37], s[34:35], s[30:31]
	s_mul_hi_u32 s41, s30, s37
	s_mul_i32 s40, s30, s37
	s_mul_hi_u32 s38, s30, s36
	s_mul_i32 s27, s31, s36
	s_add_nc_u64 s[40:41], s[38:39], s[40:41]
	s_mul_hi_u32 s2, s31, s36
	s_mul_hi_u32 s29, s31, s37
	s_add_co_u32 s27, s40, s27
	s_add_co_ci_u32 s38, s41, s2
	s_mul_i32 s36, s31, s37
	s_add_co_ci_u32 s37, s29, 0
	s_delay_alu instid0(SALU_CYCLE_1) | instskip(NEXT) | instid1(SALU_CYCLE_1)
	s_add_nc_u64 s[36:37], s[38:39], s[36:37]
	s_add_co_u32 s30, s30, s36
	s_cselect_b32 s2, -1, 0
	s_delay_alu instid0(SALU_CYCLE_1) | instskip(SKIP_1) | instid1(SALU_CYCLE_1)
	s_cmp_lg_u32 s2, 0
	s_add_co_ci_u32 s31, s31, s37
	s_mul_u64 s[34:35], s[34:35], s[30:31]
	s_delay_alu instid0(SALU_CYCLE_1)
	s_mul_hi_u32 s37, s30, s35
	s_mul_i32 s36, s30, s35
	s_mul_hi_u32 s38, s30, s34
	s_mul_i32 s27, s31, s34
	s_add_nc_u64 s[36:37], s[38:39], s[36:37]
	s_mul_hi_u32 s2, s31, s34
	s_mul_hi_u32 s29, s31, s35
	s_add_co_u32 s27, s36, s27
	s_add_co_ci_u32 s38, s37, s2
	s_mul_i32 s34, s31, s35
	s_add_co_ci_u32 s35, s29, 0
	s_delay_alu instid0(SALU_CYCLE_1) | instskip(NEXT) | instid1(SALU_CYCLE_1)
	s_add_nc_u64 s[34:35], s[38:39], s[34:35]
	s_add_co_u32 s2, s30, s34
	s_cselect_b32 s27, -1, 0
	v_nop
	v_mul_hi_u32 v16, v8, s2
	s_cmp_lg_u32 s27, 0
	s_add_co_ci_u32 s38, s31, s35
	s_mov_b64 s[30:31], 0xffffffff
	v_mul_u64_e32 v[6:7], s[38:39], v[6:7]
	s_and_b64 s[30:31], s[2:3], s[30:31]
	s_delay_alu instid0(SALU_CYCLE_1) | instskip(SKIP_1) | instid1(VALU_DEP_3)
	v_mul_u64_e32 v[14:15], s[30:31], v[12:13]
	v_mul_u64_e32 v[12:13], s[38:39], v[12:13]
	v_add_nc_u64_e32 v[6:7], v[16:17], v[6:7]
	s_delay_alu instid0(VALU_DEP_1) | instskip(NEXT) | instid1(VALU_DEP_2)
	v_add_co_u32 v6, vcc_lo, v6, v14
	v_add_co_ci_u32_e32 v10, vcc_lo, v7, v15, vcc_lo
	s_delay_alu instid0(VALU_DEP_4) | instskip(NEXT) | instid1(VALU_DEP_1)
	v_add_co_ci_u32_e32 v13, vcc_lo, 0, v13, vcc_lo
	v_add_nc_u64_e32 v[6:7], v[10:11], v[12:13]
	s_delay_alu instid0(VALU_DEP_1) | instskip(NEXT) | instid1(VALU_DEP_1)
	v_mul_u64_e32 v[6:7], s[16:17], v[6:7]
	v_sub_nc_u32_e32 v10, v9, v7
	s_delay_alu instid0(VALU_DEP_2) | instskip(NEXT) | instid1(VALU_DEP_1)
	v_sub_co_u32 v6, vcc_lo, v8, v6
	v_sub_co_ci_u32_e64 v7, null, v9, v7, vcc_lo
	s_delay_alu instid0(VALU_DEP_3) | instskip(NEXT) | instid1(VALU_DEP_3)
	v_subrev_co_ci_u32_e64 v8, null, s17, v10, vcc_lo
	v_sub_co_u32 v9, vcc_lo, v6, s16
	v_cmp_le_u32_e64 s2, s16, v6
	s_delay_alu instid0(VALU_DEP_3) | instskip(SKIP_1) | instid1(VALU_DEP_3)
	v_subrev_co_ci_u32_e64 v10, null, 0, v8, vcc_lo
	v_subrev_co_ci_u32_e64 v8, null, s17, v8, vcc_lo
	v_cndmask_b32_e64 v11, 0, -1, s2
	v_cmp_le_u32_e64 s2, s16, v9
	v_cmp_le_u32_e32 vcc_lo, s17, v7
	s_delay_alu instid0(VALU_DEP_2) | instskip(SKIP_3) | instid1(VALU_DEP_3)
	v_cndmask_b32_e64 v12, 0, -1, s2
	v_cmp_le_u32_e64 s2, s17, v10
	v_cndmask_b32_e64 v14, 0, -1, vcc_lo
	v_cmp_eq_u32_e32 vcc_lo, s17, v10
	v_cndmask_b32_e64 v13, 0, -1, s2
	s_delay_alu instid0(VALU_DEP_1) | instskip(SKIP_1) | instid1(VALU_DEP_1)
	v_cndmask_b32_e32 v10, v13, v12, vcc_lo
	v_sub_co_u32 v12, vcc_lo, v9, s16
	v_subrev_co_ci_u32_e64 v8, null, 0, v8, vcc_lo
	v_cmp_eq_u32_e32 vcc_lo, s17, v7
	v_cndmask_b32_e32 v7, v14, v11, vcc_lo
	v_cmp_ne_u32_e32 vcc_lo, 0, v10
	v_cndmask_b32_e32 v8, v9, v12, vcc_lo
	s_delay_alu instid0(VALU_DEP_3) | instskip(NEXT) | instid1(VALU_DEP_2)
	v_cmp_ne_u32_e32 vcc_lo, 0, v7
	v_cndmask_b32_e32 v6, v6, v8, vcc_lo
                                        ; implicit-def: $vgpr8_vgpr9
.LBB7_23:
	s_and_not1_saveexec_b32 s2, s26
	s_cbranch_execz .LBB7_25
; %bb.24:
	v_cvt_f32_u32_e32 v6, s16
	s_sub_co_i32 s26, 0, s16
	s_delay_alu instid0(VALU_DEP_1) | instskip(SKIP_1) | instid1(TRANS32_DEP_1)
	v_rcp_iflag_f32_e32 v6, v6
	v_nop
	v_mul_f32_e32 v6, 0x4f7ffffe, v6
	s_delay_alu instid0(VALU_DEP_1) | instskip(NEXT) | instid1(VALU_DEP_1)
	v_cvt_u32_f32_e32 v6, v6
	v_mul_lo_u32 v7, s26, v6
	s_delay_alu instid0(VALU_DEP_1) | instskip(NEXT) | instid1(VALU_DEP_1)
	v_mul_hi_u32 v7, v6, v7
	v_add_nc_u32_e32 v6, v6, v7
	s_delay_alu instid0(VALU_DEP_1) | instskip(NEXT) | instid1(VALU_DEP_1)
	v_mul_hi_u32 v6, v8, v6
	v_mul_lo_u32 v6, v6, s16
	s_delay_alu instid0(VALU_DEP_1) | instskip(NEXT) | instid1(VALU_DEP_1)
	v_sub_nc_u32_e32 v6, v8, v6
	v_subrev_nc_u32_e32 v7, s16, v6
	v_cmp_le_u32_e32 vcc_lo, s16, v6
	s_delay_alu instid0(VALU_DEP_2) | instskip(NEXT) | instid1(VALU_DEP_1)
	v_cndmask_b32_e32 v6, v6, v7, vcc_lo
	v_subrev_nc_u32_e32 v7, s16, v6
	v_cmp_le_u32_e32 vcc_lo, s16, v6
	s_delay_alu instid0(VALU_DEP_2)
	v_cndmask_b32_e32 v6, v6, v7, vcc_lo
.LBB7_25:
	s_or_b32 exec_lo, exec_lo, s2
	v_dual_mov_b32 v8, 0 :: v_dual_bitop2_b32 v9, s19, v5 bitop3:0x54
                                        ; implicit-def: $vgpr10_vgpr11
	s_mov_b32 s2, exec_lo
	s_delay_alu instid0(VALU_DEP_1)
	v_cmpx_ne_u64_e32 0, v[8:9]
	s_xor_b32 s26, exec_lo, s2
	s_cbranch_execz .LBB7_27
; %bb.26:
	s_fmamk_f32 s2, s28, 0x4f800000, s3
	s_mov_b32 s31, 0
	v_dual_mov_b32 v10, v4 :: v_dual_mov_b32 v11, v8
	s_delay_alu instid0(SALU_CYCLE_1) | instskip(SKIP_2) | instid1(TRANS32_DEP_1)
	v_s_rcp_f32 s2, s2
	v_dual_mov_b32 v12, v5 :: v_dual_mov_b32 v13, v8
	v_dual_mov_b32 v17, v8 :: v_dual_mov_b32 v9, v8
	s_mul_f32 s2, s2, 0x5f7ffffc
	s_delay_alu instid0(SALU_CYCLE_3) | instskip(NEXT) | instid1(SALU_CYCLE_3)
	s_mul_f32 s3, s2, 0x2f800000
	s_trunc_f32 s3, s3
	s_delay_alu instid0(SALU_CYCLE_3) | instskip(SKIP_1) | instid1(SALU_CYCLE_2)
	s_fmamk_f32 s2, s3, 0xcf800000, s2
	s_cvt_u32_f32 s3, s3
	s_cvt_u32_f32 s2, s2
	s_delay_alu instid0(SALU_CYCLE_3) | instskip(NEXT) | instid1(SALU_CYCLE_1)
	s_mul_u64 s[28:29], s[24:25], s[2:3]
	s_mul_hi_u32 s35, s2, s29
	s_mul_i32 s34, s2, s29
	s_mul_hi_u32 s30, s2, s28
	s_mul_i32 s33, s3, s28
	s_add_nc_u64 s[34:35], s[30:31], s[34:35]
	s_mul_hi_u32 s27, s3, s28
	s_mul_hi_u32 s36, s3, s29
	s_mul_i32 s28, s3, s29
	s_add_co_u32 s29, s34, s33
	s_add_co_ci_u32 s30, s35, s27
	s_add_co_ci_u32 s29, s36, 0
	s_delay_alu instid0(SALU_CYCLE_1) | instskip(NEXT) | instid1(SALU_CYCLE_1)
	s_add_nc_u64 s[28:29], s[30:31], s[28:29]
	s_add_co_u32 s2, s2, s28
	s_cselect_b32 s27, -1, 0
	s_delay_alu instid0(SALU_CYCLE_1) | instskip(SKIP_1) | instid1(SALU_CYCLE_1)
	s_cmp_lg_u32 s27, 0
	s_add_co_ci_u32 s3, s3, s29
	s_mul_u64 s[24:25], s[24:25], s[2:3]
	s_delay_alu instid0(SALU_CYCLE_1)
	s_mul_hi_u32 s29, s2, s25
	s_mul_i32 s28, s2, s25
	s_mul_hi_u32 s30, s2, s24
	s_mul_i32 s33, s3, s24
	s_add_nc_u64 s[28:29], s[30:31], s[28:29]
	s_mul_hi_u32 s27, s3, s24
	s_mul_hi_u32 s34, s3, s25
	s_mul_i32 s24, s3, s25
	s_add_co_u32 s25, s28, s33
	s_add_co_ci_u32 s30, s29, s27
	s_add_co_ci_u32 s25, s34, 0
	s_delay_alu instid0(SALU_CYCLE_1) | instskip(NEXT) | instid1(SALU_CYCLE_1)
	s_add_nc_u64 s[24:25], s[30:31], s[24:25]
	s_add_co_u32 s2, s2, s24
	s_cselect_b32 s24, -1, 0
	v_mul_hi_u32 v16, v4, s2
	s_cmp_lg_u32 s24, 0
	s_add_co_ci_u32 s30, s3, s25
	s_mov_b64 s[24:25], 0xffffffff
	v_mul_u64_e32 v[10:11], s[30:31], v[10:11]
	s_and_b64 s[24:25], s[2:3], s[24:25]
	s_delay_alu instid0(SALU_CYCLE_1) | instskip(SKIP_1) | instid1(VALU_DEP_3)
	v_mul_u64_e32 v[14:15], s[24:25], v[12:13]
	v_mul_u64_e32 v[12:13], s[30:31], v[12:13]
	v_add_nc_u64_e32 v[10:11], v[16:17], v[10:11]
	s_delay_alu instid0(VALU_DEP_1) | instskip(NEXT) | instid1(VALU_DEP_2)
	v_add_co_u32 v3, vcc_lo, v10, v14
	v_add_co_ci_u32_e32 v8, vcc_lo, v11, v15, vcc_lo
	s_delay_alu instid0(VALU_DEP_4) | instskip(NEXT) | instid1(VALU_DEP_1)
	v_add_co_ci_u32_e32 v13, vcc_lo, 0, v13, vcc_lo
	v_add_nc_u64_e32 v[8:9], v[8:9], v[12:13]
	s_delay_alu instid0(VALU_DEP_1) | instskip(NEXT) | instid1(VALU_DEP_1)
	v_mul_u64_e32 v[8:9], s[18:19], v[8:9]
	v_sub_nc_u32_e32 v3, v5, v9
	s_delay_alu instid0(VALU_DEP_2) | instskip(NEXT) | instid1(VALU_DEP_1)
	v_sub_co_u32 v7, vcc_lo, v4, v8
	v_sub_co_ci_u32_e64 v5, null, v5, v9, vcc_lo
	s_delay_alu instid0(VALU_DEP_3) | instskip(NEXT) | instid1(VALU_DEP_3)
	v_subrev_co_ci_u32_e64 v3, null, s19, v3, vcc_lo
	v_sub_co_u32 v8, vcc_lo, v7, s18
	v_cmp_le_u32_e64 s2, s18, v7
	s_delay_alu instid0(VALU_DEP_3) | instskip(SKIP_1) | instid1(VALU_DEP_3)
	v_subrev_co_ci_u32_e64 v9, null, 0, v3, vcc_lo
	v_subrev_co_ci_u32_e64 v3, null, s19, v3, vcc_lo
	v_cndmask_b32_e64 v10, 0, -1, s2
	v_cmp_le_u32_e64 s2, s18, v8
	v_cmp_le_u32_e32 vcc_lo, s19, v5
	s_delay_alu instid0(VALU_DEP_2) | instskip(SKIP_3) | instid1(VALU_DEP_3)
	v_cndmask_b32_e64 v11, 0, -1, s2
	v_cmp_le_u32_e64 s2, s19, v9
	v_cndmask_b32_e64 v13, 0, -1, vcc_lo
	v_cmp_eq_u32_e32 vcc_lo, s19, v9
	v_cndmask_b32_e64 v12, 0, -1, s2
	s_delay_alu instid0(VALU_DEP_1) | instskip(SKIP_1) | instid1(VALU_DEP_1)
	v_cndmask_b32_e32 v9, v12, v11, vcc_lo
	v_sub_co_u32 v11, vcc_lo, v8, s18
	v_subrev_co_ci_u32_e64 v3, null, 0, v3, vcc_lo
	v_cmp_eq_u32_e32 vcc_lo, s19, v5
	v_cndmask_b32_e32 v3, v13, v10, vcc_lo
	v_cmp_ne_u32_e32 vcc_lo, 0, v9
	v_cndmask_b32_e32 v5, v8, v11, vcc_lo
	s_delay_alu instid0(VALU_DEP_3) | instskip(NEXT) | instid1(VALU_DEP_2)
	v_cmp_ne_u32_e32 vcc_lo, 0, v3
                                        ; implicit-def: $vgpr3
	v_cndmask_b32_e32 v10, v7, v5, vcc_lo
.LBB7_27:
	s_and_not1_saveexec_b32 s2, s26
	s_cbranch_execz .LBB7_29
; %bb.28:
	v_rcp_iflag_f32_e32 v3, v3
	s_sub_co_i32 s3, 0, s18
	v_nop
	s_delay_alu instid0(TRANS32_DEP_1) | instskip(NEXT) | instid1(VALU_DEP_1)
	v_mul_f32_e32 v3, 0x4f7ffffe, v3
	v_cvt_u32_f32_e32 v3, v3
	s_delay_alu instid0(VALU_DEP_1) | instskip(NEXT) | instid1(VALU_DEP_1)
	v_mul_lo_u32 v5, s3, v3
	v_mul_hi_u32 v5, v3, v5
	s_delay_alu instid0(VALU_DEP_1) | instskip(NEXT) | instid1(VALU_DEP_1)
	v_add_nc_u32_e32 v3, v3, v5
	v_mul_hi_u32 v3, v4, v3
	s_delay_alu instid0(VALU_DEP_1) | instskip(NEXT) | instid1(VALU_DEP_1)
	v_mul_lo_u32 v3, v3, s18
	v_sub_nc_u32_e32 v3, v4, v3
	s_delay_alu instid0(VALU_DEP_1) | instskip(SKIP_1) | instid1(VALU_DEP_2)
	v_subrev_nc_u32_e32 v5, s18, v3
	v_cmp_le_u32_e32 vcc_lo, s18, v3
	v_cndmask_b32_e32 v3, v3, v5, vcc_lo
	s_delay_alu instid0(VALU_DEP_1) | instskip(SKIP_1) | instid1(VALU_DEP_2)
	v_subrev_nc_u32_e32 v5, s18, v3
	v_cmp_le_u32_e32 vcc_lo, s18, v3
	v_cndmask_b32_e32 v10, v3, v5, vcc_lo
.LBB7_29:
	s_or_b32 exec_lo, exec_lo, s2
	v_mul_lo_u32 v3, v4, s20
	s_load_b96 s[0:2], s[0:1], 0x50
	s_delay_alu instid0(VALU_DEP_2) | instskip(SKIP_1) | instid1(VALU_DEP_2)
	v_cvt_f32_i32_e32 v4, v10
	v_cvt_f32_i32_e32 v5, v6
	v_dual_ashrrev_i32 v8, 31, v2 :: v_dual_add_f32 v4, 0.5, v4
	s_delay_alu instid0(VALU_DEP_2) | instskip(SKIP_1) | instid1(VALU_DEP_2)
	v_dual_add_f32 v5, 0.5, v5 :: v_dual_sub_nc_u32 v3, v0, v3
	v_lshl_add_u64 v[0:1], v[0:1], 1, s[22:23]
	v_cvt_f32_i32_e32 v3, v3
	s_wait_kmcnt 0x0
	s_delay_alu instid0(VALU_DEP_1) | instskip(SKIP_2) | instid1(VALU_DEP_2)
	v_dual_add_f32 v3, 0.5, v3 :: v_dual_mul_f32 v6, s1, v4
	v_mul_f32_e32 v5, s0, v5
	s_mul_u64 s[0:1], s[14:15], s[12:13]
	v_mul_f32_e32 v3, s2, v3
	s_mul_u64 s[0:1], s[0:1], s[10:11]
	s_mul_u64 s[2:3], s[20:21], s[18:19]
	s_delay_alu instid0(SALU_CYCLE_1) | instskip(NEXT) | instid1(VALU_DEP_1)
	s_mul_u64 s[2:3], s[2:3], s[16:17]
	v_floor_f32_e32 v3, v3
	s_mul_u64 s[2:3], s[2:3], s[8:9]
	s_delay_alu instid0(SALU_CYCLE_1) | instskip(NEXT) | instid1(VALU_DEP_1)
	s_lshl_b64 s[2:3], s[2:3], 1
	v_cvt_i32_f32_e32 v3, v3
	s_delay_alu instid0(VALU_DEP_1) | instskip(SKIP_2) | instid1(VALU_DEP_3)
	v_add_min_i32_e64 v4, s14, -1, v3
	v_floor_f32_e32 v3, v6
	v_floor_f32_e32 v6, v5
	v_ashrrev_i32_e32 v5, 31, v4
	s_delay_alu instid0(VALU_DEP_3) | instskip(NEXT) | instid1(VALU_DEP_3)
	v_cvt_i32_f32_e32 v3, v3
	v_cvt_i32_f32_e32 v7, v6
	s_delay_alu instid0(VALU_DEP_3) | instskip(NEXT) | instid1(VALU_DEP_3)
	v_mad_nc_u64_u32 v[4:5], v2, s0, v[4:5]
	v_add_min_i32_e64 v6, s12, -1, v3
	s_delay_alu instid0(VALU_DEP_3) | instskip(NEXT) | instid1(VALU_DEP_2)
	v_add_min_i32_e64 v3, s10, -1, v7
	v_ashrrev_i32_e32 v7, 31, v6
	s_delay_alu instid0(VALU_DEP_1) | instskip(SKIP_1) | instid1(VALU_DEP_2)
	v_mad_nc_u64_u32 v[6:7], s12, v3, v[6:7]
	v_mad_u32 v5, v8, s0, v5
	v_mad_u32 v7, s13, v3, v7
	s_delay_alu instid0(VALU_DEP_2) | instskip(SKIP_3) | instid1(VALU_DEP_1)
	v_mad_u32 v5, v2, s1, v5
	v_ashrrev_i32_e32 v2, 31, v3
	s_mul_u64 s[0:1], s[0:1], s[8:9]
	s_mov_b64 s[8:9], 0
	v_mad_u32 v7, s12, v2, v7
	s_delay_alu instid0(VALU_DEP_3) | instskip(NEXT) | instid1(VALU_DEP_1)
	v_mad_nc_u64_u32 v[2:3], v6, s14, v[4:5]
	v_mad_u32 v3, v7, s14, v3
	s_delay_alu instid0(VALU_DEP_1)
	v_mad_u32 v3, v6, s15, v3
.LBB7_30:                               ; =>This Inner Loop Header: Depth=1
	s_delay_alu instid0(VALU_DEP_1)
	v_lshl_add_u64 v[4:5], v[2:3], 1, s[4:5]
	s_add_nc_u64 s[8:9], s[8:9], 1
	v_add_nc_u64_e32 v[2:3], s[0:1], v[2:3]
	v_cmp_gt_u64_e64 s10, s[6:7], s[8:9]
	global_load_u16 v4, v[4:5], off
	s_and_b32 vcc_lo, exec_lo, s10
	s_wait_loadcnt 0x0
	global_store_b16 v[0:1], v4, off
	s_wait_xcnt 0x0
	v_add_nc_u64_e32 v[0:1], s[2:3], v[0:1]
	s_cbranch_vccnz .LBB7_30
.LBB7_31:
	s_endpgm
	.section	.rodata,"a",@progbits
	.p2align	6, 0x0
	.amdhsa_kernel _ZN2at6native12_GLOBAL__N_128upsample_nearest3d_out_frameIN3c104HalfEXadL_ZNS0_43nearest_neighbor_exact_compute_source_indexEfiiEEEEvPKT_mmmmmmmmPS5_fff
		.amdhsa_group_segment_fixed_size 0
		.amdhsa_private_segment_fixed_size 0
		.amdhsa_kernarg_size 352
		.amdhsa_user_sgpr_count 2
		.amdhsa_user_sgpr_dispatch_ptr 0
		.amdhsa_user_sgpr_queue_ptr 0
		.amdhsa_user_sgpr_kernarg_segment_ptr 1
		.amdhsa_user_sgpr_dispatch_id 0
		.amdhsa_user_sgpr_kernarg_preload_length 0
		.amdhsa_user_sgpr_kernarg_preload_offset 0
		.amdhsa_user_sgpr_private_segment_size 0
		.amdhsa_wavefront_size32 1
		.amdhsa_uses_dynamic_stack 0
		.amdhsa_enable_private_segment 0
		.amdhsa_system_sgpr_workgroup_id_x 1
		.amdhsa_system_sgpr_workgroup_id_y 0
		.amdhsa_system_sgpr_workgroup_id_z 0
		.amdhsa_system_sgpr_workgroup_info 0
		.amdhsa_system_vgpr_workitem_id 0
		.amdhsa_next_free_vgpr 18
		.amdhsa_next_free_sgpr 43
		.amdhsa_named_barrier_count 0
		.amdhsa_reserve_vcc 1
		.amdhsa_float_round_mode_32 0
		.amdhsa_float_round_mode_16_64 0
		.amdhsa_float_denorm_mode_32 3
		.amdhsa_float_denorm_mode_16_64 3
		.amdhsa_fp16_overflow 0
		.amdhsa_memory_ordered 1
		.amdhsa_forward_progress 1
		.amdhsa_inst_pref_size 43
		.amdhsa_round_robin_scheduling 0
		.amdhsa_exception_fp_ieee_invalid_op 0
		.amdhsa_exception_fp_denorm_src 0
		.amdhsa_exception_fp_ieee_div_zero 0
		.amdhsa_exception_fp_ieee_overflow 0
		.amdhsa_exception_fp_ieee_underflow 0
		.amdhsa_exception_fp_ieee_inexact 0
		.amdhsa_exception_int_div_zero 0
	.end_amdhsa_kernel
	.section	.text._ZN2at6native12_GLOBAL__N_128upsample_nearest3d_out_frameIN3c104HalfEXadL_ZNS0_43nearest_neighbor_exact_compute_source_indexEfiiEEEEvPKT_mmmmmmmmPS5_fff,"axG",@progbits,_ZN2at6native12_GLOBAL__N_128upsample_nearest3d_out_frameIN3c104HalfEXadL_ZNS0_43nearest_neighbor_exact_compute_source_indexEfiiEEEEvPKT_mmmmmmmmPS5_fff,comdat
.Lfunc_end7:
	.size	_ZN2at6native12_GLOBAL__N_128upsample_nearest3d_out_frameIN3c104HalfEXadL_ZNS0_43nearest_neighbor_exact_compute_source_indexEfiiEEEEvPKT_mmmmmmmmPS5_fff, .Lfunc_end7-_ZN2at6native12_GLOBAL__N_128upsample_nearest3d_out_frameIN3c104HalfEXadL_ZNS0_43nearest_neighbor_exact_compute_source_indexEfiiEEEEvPKT_mmmmmmmmPS5_fff
                                        ; -- End function
	.set _ZN2at6native12_GLOBAL__N_128upsample_nearest3d_out_frameIN3c104HalfEXadL_ZNS0_43nearest_neighbor_exact_compute_source_indexEfiiEEEEvPKT_mmmmmmmmPS5_fff.num_vgpr, 18
	.set _ZN2at6native12_GLOBAL__N_128upsample_nearest3d_out_frameIN3c104HalfEXadL_ZNS0_43nearest_neighbor_exact_compute_source_indexEfiiEEEEvPKT_mmmmmmmmPS5_fff.num_agpr, 0
	.set _ZN2at6native12_GLOBAL__N_128upsample_nearest3d_out_frameIN3c104HalfEXadL_ZNS0_43nearest_neighbor_exact_compute_source_indexEfiiEEEEvPKT_mmmmmmmmPS5_fff.numbered_sgpr, 43
	.set _ZN2at6native12_GLOBAL__N_128upsample_nearest3d_out_frameIN3c104HalfEXadL_ZNS0_43nearest_neighbor_exact_compute_source_indexEfiiEEEEvPKT_mmmmmmmmPS5_fff.num_named_barrier, 0
	.set _ZN2at6native12_GLOBAL__N_128upsample_nearest3d_out_frameIN3c104HalfEXadL_ZNS0_43nearest_neighbor_exact_compute_source_indexEfiiEEEEvPKT_mmmmmmmmPS5_fff.private_seg_size, 0
	.set _ZN2at6native12_GLOBAL__N_128upsample_nearest3d_out_frameIN3c104HalfEXadL_ZNS0_43nearest_neighbor_exact_compute_source_indexEfiiEEEEvPKT_mmmmmmmmPS5_fff.uses_vcc, 1
	.set _ZN2at6native12_GLOBAL__N_128upsample_nearest3d_out_frameIN3c104HalfEXadL_ZNS0_43nearest_neighbor_exact_compute_source_indexEfiiEEEEvPKT_mmmmmmmmPS5_fff.uses_flat_scratch, 0
	.set _ZN2at6native12_GLOBAL__N_128upsample_nearest3d_out_frameIN3c104HalfEXadL_ZNS0_43nearest_neighbor_exact_compute_source_indexEfiiEEEEvPKT_mmmmmmmmPS5_fff.has_dyn_sized_stack, 0
	.set _ZN2at6native12_GLOBAL__N_128upsample_nearest3d_out_frameIN3c104HalfEXadL_ZNS0_43nearest_neighbor_exact_compute_source_indexEfiiEEEEvPKT_mmmmmmmmPS5_fff.has_recursion, 0
	.set _ZN2at6native12_GLOBAL__N_128upsample_nearest3d_out_frameIN3c104HalfEXadL_ZNS0_43nearest_neighbor_exact_compute_source_indexEfiiEEEEvPKT_mmmmmmmmPS5_fff.has_indirect_call, 0
	.section	.AMDGPU.csdata,"",@progbits
; Kernel info:
; codeLenInByte = 5416
; TotalNumSgprs: 45
; NumVgprs: 18
; ScratchSize: 0
; MemoryBound: 0
; FloatMode: 240
; IeeeMode: 1
; LDSByteSize: 0 bytes/workgroup (compile time only)
; SGPRBlocks: 0
; VGPRBlocks: 1
; NumSGPRsForWavesPerEU: 45
; NumVGPRsForWavesPerEU: 18
; NamedBarCnt: 0
; Occupancy: 16
; WaveLimiterHint : 0
; COMPUTE_PGM_RSRC2:SCRATCH_EN: 0
; COMPUTE_PGM_RSRC2:USER_SGPR: 2
; COMPUTE_PGM_RSRC2:TRAP_HANDLER: 0
; COMPUTE_PGM_RSRC2:TGID_X_EN: 1
; COMPUTE_PGM_RSRC2:TGID_Y_EN: 0
; COMPUTE_PGM_RSRC2:TGID_Z_EN: 0
; COMPUTE_PGM_RSRC2:TIDIG_COMP_CNT: 0
	.section	.text._ZN2at6native12_GLOBAL__N_128upsample_nearest3d_out_frameIN3c108BFloat16EXadL_ZNS0_43nearest_neighbor_exact_compute_source_indexEfiiEEEEvPKT_mmmmmmmmPS5_fff,"axG",@progbits,_ZN2at6native12_GLOBAL__N_128upsample_nearest3d_out_frameIN3c108BFloat16EXadL_ZNS0_43nearest_neighbor_exact_compute_source_indexEfiiEEEEvPKT_mmmmmmmmPS5_fff,comdat
	.globl	_ZN2at6native12_GLOBAL__N_128upsample_nearest3d_out_frameIN3c108BFloat16EXadL_ZNS0_43nearest_neighbor_exact_compute_source_indexEfiiEEEEvPKT_mmmmmmmmPS5_fff ; -- Begin function _ZN2at6native12_GLOBAL__N_128upsample_nearest3d_out_frameIN3c108BFloat16EXadL_ZNS0_43nearest_neighbor_exact_compute_source_indexEfiiEEEEvPKT_mmmmmmmmPS5_fff
	.p2align	8
	.type	_ZN2at6native12_GLOBAL__N_128upsample_nearest3d_out_frameIN3c108BFloat16EXadL_ZNS0_43nearest_neighbor_exact_compute_source_indexEfiiEEEEvPKT_mmmmmmmmPS5_fff,@function
_ZN2at6native12_GLOBAL__N_128upsample_nearest3d_out_frameIN3c108BFloat16EXadL_ZNS0_43nearest_neighbor_exact_compute_source_indexEfiiEEEEvPKT_mmmmmmmmPS5_fff: ; @_ZN2at6native12_GLOBAL__N_128upsample_nearest3d_out_frameIN3c108BFloat16EXadL_ZNS0_43nearest_neighbor_exact_compute_source_indexEfiiEEEEvPKT_mmmmmmmmPS5_fff
; %bb.0:
	s_clause 0x2
	s_load_b32 s2, s[0:1], 0x6c
	s_load_b512 s[4:19], s[0:1], 0x0
	s_load_b128 s[20:23], s[0:1], 0x40
	s_bfe_u32 s3, ttmp6, 0x4000c
	v_mov_b32_e32 v2, 0
	s_add_co_i32 s3, s3, 1
	s_and_b32 s24, ttmp6, 15
	s_mul_i32 s3, ttmp9, s3
	s_getreg_b32 s25, hwreg(HW_REG_IB_STS2, 6, 4)
	v_mov_b32_e32 v1, v2
	s_add_co_i32 s24, s24, s3
	s_wait_kmcnt 0x0
	s_and_b32 s2, s2, 0xffff
	s_cmp_eq_u32 s25, 0
	s_cselect_b32 s3, ttmp9, s24
	s_cmp_lg_u64 s[6:7], 0
	v_mad_nc_u64_u32 v[0:1], s2, s3, v[0:1]
	s_mul_u64 s[2:3], s[18:19], s[16:17]
	s_delay_alu instid0(SALU_CYCLE_1) | instskip(NEXT) | instid1(SALU_CYCLE_1)
	s_mul_u64 s[24:25], s[2:3], s[8:9]
	s_mul_u64 s[24:25], s[24:25], s[20:21]
	s_delay_alu instid0(VALU_DEP_1) | instid1(SALU_CYCLE_1)
	v_cmp_gt_u64_e32 vcc_lo, s[24:25], v[0:1]
	s_cselect_b32 s24, -1, 0
	s_delay_alu instid0(SALU_CYCLE_1) | instskip(NEXT) | instid1(SALU_CYCLE_1)
	s_and_b32 s24, vcc_lo, s24
	s_and_saveexec_b32 s25, s24
	s_cbranch_execz .LBB8_31
; %bb.1:
	s_mul_u64 s[24:25], s[2:3], s[20:21]
                                        ; implicit-def: $vgpr4_vgpr5
	s_mov_b32 s2, exec_lo
	v_or_b32_e32 v3, s25, v1
	s_delay_alu instid0(VALU_DEP_1)
	v_cmpx_ne_u64_e32 0, v[2:3]
	s_xor_b32 s3, exec_lo, s2
	s_cbranch_execz .LBB8_3
; %bb.2:
	s_ashr_i32 s26, s25, 31
	s_mov_b32 s39, 0
	s_mov_b32 s27, s26
	v_dual_mov_b32 v7, 0 :: v_dual_ashrrev_i32 v2, 31, v1
	s_add_nc_u64 s[28:29], s[24:25], s[26:27]
	s_delay_alu instid0(SALU_CYCLE_1) | instskip(NEXT) | instid1(VALU_DEP_1)
	s_xor_b64 s[28:29], s[28:29], s[26:27]
	v_mov_b32_e32 v3, v2
	s_cvt_f32_u32 s2, s28
	s_cvt_f32_u32 s25, s29
	s_sub_nc_u64 s[34:35], 0, s[28:29]
	s_delay_alu instid0(VALU_DEP_1) | instskip(NEXT) | instid1(SALU_CYCLE_1)
	v_add_nc_u64_e32 v[4:5], v[0:1], v[2:3]
	s_fmamk_f32 s2, s25, 0x4f800000, s2
	v_mov_b32_e32 v9, v7
	s_delay_alu instid0(SALU_CYCLE_2) | instskip(NEXT) | instid1(VALU_DEP_2)
	v_s_rcp_f32 s2, s2
	v_xor_b32_e32 v6, v4, v2
	s_delay_alu instid0(VALU_DEP_3) | instskip(SKIP_1) | instid1(TRANS32_DEP_1)
	v_dual_mov_b32 v15, v7 :: v_dual_bitop2_b32 v8, v5, v2 bitop3:0x14
	v_xor_b32_e32 v2, s26, v2
	s_mul_f32 s2, s2, 0x5f7ffffc
	s_delay_alu instid0(SALU_CYCLE_3) | instskip(NEXT) | instid1(SALU_CYCLE_3)
	s_mul_f32 s25, s2, 0x2f800000
	s_trunc_f32 s25, s25
	s_delay_alu instid0(SALU_CYCLE_3) | instskip(SKIP_1) | instid1(SALU_CYCLE_2)
	s_fmamk_f32 s2, s25, 0xcf800000, s2
	s_cvt_u32_f32 s31, s25
	s_cvt_u32_f32 s30, s2
	s_delay_alu instid0(SALU_CYCLE_3) | instskip(NEXT) | instid1(SALU_CYCLE_1)
	s_mul_u64 s[36:37], s[34:35], s[30:31]
	s_mul_hi_u32 s41, s30, s37
	s_mul_i32 s40, s30, s37
	s_mul_hi_u32 s38, s30, s36
	s_mul_i32 s25, s31, s36
	s_add_nc_u64 s[40:41], s[38:39], s[40:41]
	s_mul_hi_u32 s2, s31, s36
	s_mul_hi_u32 s27, s31, s37
	s_add_co_u32 s25, s40, s25
	s_add_co_ci_u32 s38, s41, s2
	s_mul_i32 s36, s31, s37
	s_add_co_ci_u32 s37, s27, 0
	s_delay_alu instid0(SALU_CYCLE_1) | instskip(NEXT) | instid1(SALU_CYCLE_1)
	s_add_nc_u64 s[36:37], s[38:39], s[36:37]
	s_add_co_u32 s30, s30, s36
	s_cselect_b32 s2, -1, 0
	s_delay_alu instid0(SALU_CYCLE_1) | instskip(SKIP_1) | instid1(SALU_CYCLE_1)
	s_cmp_lg_u32 s2, 0
	s_add_co_ci_u32 s31, s31, s37
	s_mul_u64 s[34:35], s[34:35], s[30:31]
	s_delay_alu instid0(SALU_CYCLE_1)
	s_mul_hi_u32 s37, s30, s35
	s_mul_i32 s36, s30, s35
	s_mul_hi_u32 s38, s30, s34
	s_mul_i32 s25, s31, s34
	s_add_nc_u64 s[36:37], s[38:39], s[36:37]
	s_mul_hi_u32 s2, s31, s34
	s_mul_hi_u32 s27, s31, s35
	s_add_co_u32 s25, s36, s25
	s_add_co_ci_u32 s38, s37, s2
	s_mul_i32 s34, s31, s35
	s_add_co_ci_u32 s35, s27, 0
	s_delay_alu instid0(SALU_CYCLE_1) | instskip(NEXT) | instid1(SALU_CYCLE_1)
	s_add_nc_u64 s[34:35], s[38:39], s[34:35]
	s_add_co_u32 s2, s30, s34
	s_cselect_b32 s25, -1, 0
	v_mul_hi_u32 v14, v6, s2
	s_cmp_lg_u32 s25, 0
	s_add_co_ci_u32 s38, s31, s35
	s_mov_b64 s[30:31], 0xffffffff
	v_mul_u64_e32 v[10:11], s[38:39], v[6:7]
	s_and_b64 s[30:31], s[2:3], s[30:31]
	v_mul_u64_e32 v[12:13], s[38:39], v[8:9]
	v_mul_u64_e32 v[4:5], s[30:31], v[8:9]
	s_delay_alu instid0(VALU_DEP_3) | instskip(NEXT) | instid1(VALU_DEP_1)
	v_add_nc_u64_e32 v[10:11], v[14:15], v[10:11]
	v_add_co_u32 v3, vcc_lo, v10, v4
	s_delay_alu instid0(VALU_DEP_2) | instskip(SKIP_1) | instid1(VALU_DEP_1)
	v_add_co_ci_u32_e32 v14, vcc_lo, v11, v5, vcc_lo
	v_add_co_ci_u32_e32 v13, vcc_lo, 0, v13, vcc_lo
	v_add_nc_u64_e32 v[4:5], v[14:15], v[12:13]
	s_delay_alu instid0(VALU_DEP_1) | instskip(NEXT) | instid1(VALU_DEP_1)
	v_mul_u64_e32 v[10:11], s[28:29], v[4:5]
	v_sub_nc_u32_e32 v3, v8, v11
	s_delay_alu instid0(VALU_DEP_2) | instskip(NEXT) | instid1(VALU_DEP_1)
	v_sub_co_u32 v6, vcc_lo, v6, v10
	v_sub_co_ci_u32_e64 v10, null, v8, v11, vcc_lo
	s_delay_alu instid0(VALU_DEP_3) | instskip(NEXT) | instid1(VALU_DEP_3)
	v_subrev_co_ci_u32_e64 v3, null, s29, v3, vcc_lo
	v_sub_co_u32 v7, s2, v6, s28
	s_delay_alu instid0(VALU_DEP_1) | instskip(NEXT) | instid1(VALU_DEP_2)
	v_subrev_co_ci_u32_e64 v3, null, 0, v3, s2
	v_cmp_le_u32_e32 vcc_lo, s28, v7
	v_cndmask_b32_e64 v7, 0, -1, vcc_lo
	s_delay_alu instid0(VALU_DEP_3)
	v_cmp_le_u32_e32 vcc_lo, s29, v3
	v_cndmask_b32_e64 v8, 0, -1, vcc_lo
	v_cmp_le_u32_e32 vcc_lo, s28, v6
	v_cndmask_b32_e64 v11, 0, -1, vcc_lo
	;; [unrolled: 2-line block ×3, first 2 shown]
	v_cmp_eq_u32_e32 vcc_lo, s29, v3
	v_cndmask_b32_e32 v3, v8, v7, vcc_lo
	v_cmp_eq_u32_e32 vcc_lo, s29, v10
	v_add_nc_u64_e32 v[6:7], 2, v[4:5]
	v_add_nc_u64_e32 v[8:9], 1, v[4:5]
	v_cndmask_b32_e32 v10, v12, v11, vcc_lo
	v_cmp_ne_u32_e32 vcc_lo, 0, v3
	s_delay_alu instid0(VALU_DEP_2) | instskip(NEXT) | instid1(VALU_DEP_4)
	v_cmp_ne_u32_e64 s2, 0, v10
	v_dual_cndmask_b32 v6, v8, v6 :: v_dual_cndmask_b32 v3, v9, v7
	s_delay_alu instid0(VALU_DEP_1) | instskip(NEXT) | instid1(VALU_DEP_1)
	v_dual_cndmask_b32 v4, v4, v6, s2 :: v_dual_cndmask_b32 v5, v5, v3, s2
	v_dual_mov_b32 v3, v2 :: v_dual_bitop2_b32 v4, v4, v2 bitop3:0x14
	s_delay_alu instid0(VALU_DEP_2) | instskip(NEXT) | instid1(VALU_DEP_1)
	v_xor_b32_e32 v5, v5, v2
	v_sub_nc_u64_e32 v[4:5], v[4:5], v[2:3]
.LBB8_3:
	s_and_not1_saveexec_b32 s2, s3
	s_cbranch_execz .LBB8_5
; %bb.4:
	v_cvt_f32_u32_e32 v2, s24
	s_sub_co_i32 s3, 0, s24
	s_delay_alu instid0(VALU_DEP_1) | instskip(SKIP_1) | instid1(TRANS32_DEP_1)
	v_rcp_iflag_f32_e32 v2, v2
	v_nop
	v_mul_f32_e32 v2, 0x4f7ffffe, v2
	s_delay_alu instid0(VALU_DEP_1) | instskip(NEXT) | instid1(VALU_DEP_1)
	v_cvt_u32_f32_e32 v2, v2
	v_mul_lo_u32 v3, s3, v2
	s_delay_alu instid0(VALU_DEP_1) | instskip(NEXT) | instid1(VALU_DEP_1)
	v_mul_hi_u32 v3, v2, v3
	v_add_nc_u32_e32 v2, v2, v3
	s_delay_alu instid0(VALU_DEP_1) | instskip(NEXT) | instid1(VALU_DEP_1)
	v_mul_hi_u32 v2, v0, v2
	v_mul_lo_u32 v3, v2, s24
	s_delay_alu instid0(VALU_DEP_1) | instskip(NEXT) | instid1(VALU_DEP_1)
	v_dual_add_nc_u32 v4, 1, v2 :: v_dual_sub_nc_u32 v3, v0, v3
	v_subrev_nc_u32_e32 v5, s24, v3
	v_cmp_le_u32_e32 vcc_lo, s24, v3
	s_delay_alu instid0(VALU_DEP_2) | instskip(NEXT) | instid1(VALU_DEP_4)
	v_dual_cndmask_b32 v3, v3, v5, vcc_lo :: v_dual_mov_b32 v5, 0
	v_cndmask_b32_e32 v2, v2, v4, vcc_lo
	s_delay_alu instid0(VALU_DEP_2) | instskip(NEXT) | instid1(VALU_DEP_2)
	v_cmp_le_u32_e32 vcc_lo, s24, v3
	v_add_nc_u32_e32 v4, 1, v2
	s_delay_alu instid0(VALU_DEP_1)
	v_cndmask_b32_e32 v4, v2, v4, vcc_lo
.LBB8_5:
	s_or_b32 exec_lo, exec_lo, s2
	s_delay_alu instid0(VALU_DEP_1) | instskip(SKIP_1) | instid1(VALU_DEP_1)
	v_dual_mov_b32 v6, 0 :: v_dual_bitop2_b32 v7, s9, v5 bitop3:0x54
                                        ; implicit-def: $vgpr2_vgpr3
	s_mov_b32 s2, exec_lo
	v_cmpx_ne_u64_e32 0, v[6:7]
	s_xor_b32 s3, exec_lo, s2
	s_cbranch_execz .LBB8_7
; %bb.6:
	s_cvt_f32_u32 s2, s8
	s_cvt_f32_u32 s24, s9
	s_sub_nc_u64 s[26:27], 0, s[8:9]
	s_mov_b32 s31, 0
	v_dual_mov_b32 v2, v4 :: v_dual_mov_b32 v3, v6
	s_fmamk_f32 s2, s24, 0x4f800000, s2
	v_dual_mov_b32 v8, v5 :: v_dual_mov_b32 v9, v6
	v_dual_mov_b32 v13, v6 :: v_dual_mov_b32 v7, v6
	s_delay_alu instid0(SALU_CYCLE_1) | instskip(NEXT) | instid1(TRANS32_DEP_1)
	v_s_rcp_f32 s2, s2
	s_mul_f32 s2, s2, 0x5f7ffffc
	s_delay_alu instid0(SALU_CYCLE_3) | instskip(NEXT) | instid1(SALU_CYCLE_3)
	s_mul_f32 s24, s2, 0x2f800000
	s_trunc_f32 s24, s24
	s_delay_alu instid0(SALU_CYCLE_3) | instskip(SKIP_1) | instid1(SALU_CYCLE_2)
	s_fmamk_f32 s2, s24, 0xcf800000, s2
	s_cvt_u32_f32 s25, s24
	s_cvt_u32_f32 s24, s2
	s_delay_alu instid0(SALU_CYCLE_3) | instskip(NEXT) | instid1(SALU_CYCLE_1)
	s_mul_u64 s[28:29], s[26:27], s[24:25]
	s_mul_hi_u32 s35, s24, s29
	s_mul_i32 s34, s24, s29
	s_mul_hi_u32 s30, s24, s28
	s_mul_i32 s33, s25, s28
	s_add_nc_u64 s[34:35], s[30:31], s[34:35]
	s_mul_hi_u32 s2, s25, s28
	s_mul_hi_u32 s36, s25, s29
	s_mul_i32 s28, s25, s29
	s_add_co_u32 s29, s34, s33
	s_add_co_ci_u32 s30, s35, s2
	s_add_co_ci_u32 s29, s36, 0
	s_delay_alu instid0(SALU_CYCLE_1) | instskip(NEXT) | instid1(SALU_CYCLE_1)
	s_add_nc_u64 s[28:29], s[30:31], s[28:29]
	s_add_co_u32 s24, s24, s28
	s_cselect_b32 s2, -1, 0
	s_delay_alu instid0(SALU_CYCLE_1) | instskip(SKIP_1) | instid1(SALU_CYCLE_1)
	s_cmp_lg_u32 s2, 0
	s_add_co_ci_u32 s25, s25, s29
	s_mul_u64 s[26:27], s[26:27], s[24:25]
	s_delay_alu instid0(SALU_CYCLE_1)
	s_mul_hi_u32 s29, s24, s27
	s_mul_i32 s28, s24, s27
	s_mul_hi_u32 s30, s24, s26
	s_mul_i32 s33, s25, s26
	s_add_nc_u64 s[28:29], s[30:31], s[28:29]
	s_mul_hi_u32 s2, s25, s26
	s_mul_hi_u32 s34, s25, s27
	s_mul_i32 s26, s25, s27
	s_add_co_u32 s27, s28, s33
	s_add_co_ci_u32 s30, s29, s2
	s_add_co_ci_u32 s27, s34, 0
	s_delay_alu instid0(SALU_CYCLE_1) | instskip(NEXT) | instid1(SALU_CYCLE_1)
	s_add_nc_u64 s[26:27], s[30:31], s[26:27]
	s_add_co_u32 s2, s24, s26
	s_cselect_b32 s24, -1, 0
	v_nop
	v_mul_hi_u32 v12, v4, s2
	s_cmp_lg_u32 s24, 0
	s_add_co_ci_u32 s30, s25, s27
	s_mov_b64 s[24:25], 0xffffffff
	v_mul_u64_e32 v[2:3], s[30:31], v[2:3]
	s_and_b64 s[24:25], s[2:3], s[24:25]
	s_delay_alu instid0(SALU_CYCLE_1) | instskip(SKIP_1) | instid1(VALU_DEP_3)
	v_mul_u64_e32 v[10:11], s[24:25], v[8:9]
	v_mul_u64_e32 v[8:9], s[30:31], v[8:9]
	v_add_nc_u64_e32 v[2:3], v[12:13], v[2:3]
	s_delay_alu instid0(VALU_DEP_1) | instskip(NEXT) | instid1(VALU_DEP_2)
	v_add_co_u32 v2, vcc_lo, v2, v10
	v_add_co_ci_u32_e32 v6, vcc_lo, v3, v11, vcc_lo
	s_delay_alu instid0(VALU_DEP_4) | instskip(NEXT) | instid1(VALU_DEP_1)
	v_add_co_ci_u32_e32 v9, vcc_lo, 0, v9, vcc_lo
	v_add_nc_u64_e32 v[2:3], v[6:7], v[8:9]
	s_delay_alu instid0(VALU_DEP_1) | instskip(NEXT) | instid1(VALU_DEP_1)
	v_mul_u64_e32 v[2:3], s[8:9], v[2:3]
	v_sub_nc_u32_e32 v6, v5, v3
	s_delay_alu instid0(VALU_DEP_2) | instskip(NEXT) | instid1(VALU_DEP_1)
	v_sub_co_u32 v2, vcc_lo, v4, v2
	v_sub_co_ci_u32_e64 v3, null, v5, v3, vcc_lo
	s_delay_alu instid0(VALU_DEP_3) | instskip(NEXT) | instid1(VALU_DEP_3)
	v_subrev_co_ci_u32_e64 v4, null, s9, v6, vcc_lo
	v_sub_co_u32 v5, vcc_lo, v2, s8
	v_cmp_le_u32_e64 s2, s8, v2
	s_delay_alu instid0(VALU_DEP_3) | instskip(SKIP_1) | instid1(VALU_DEP_3)
	v_subrev_co_ci_u32_e64 v6, null, 0, v4, vcc_lo
	v_subrev_co_ci_u32_e64 v4, null, s9, v4, vcc_lo
	v_cndmask_b32_e64 v7, 0, -1, s2
	v_cmp_le_u32_e64 s2, s8, v5
	v_cmp_le_u32_e32 vcc_lo, s9, v3
	s_delay_alu instid0(VALU_DEP_2) | instskip(SKIP_3) | instid1(VALU_DEP_3)
	v_cndmask_b32_e64 v8, 0, -1, s2
	v_cmp_le_u32_e64 s2, s9, v6
	v_cndmask_b32_e64 v10, 0, -1, vcc_lo
	v_cmp_eq_u32_e32 vcc_lo, s9, v6
	v_cndmask_b32_e64 v9, 0, -1, s2
	s_delay_alu instid0(VALU_DEP_1) | instskip(SKIP_1) | instid1(VALU_DEP_1)
	v_cndmask_b32_e32 v6, v9, v8, vcc_lo
	v_sub_co_u32 v8, vcc_lo, v5, s8
	v_subrev_co_ci_u32_e64 v4, null, 0, v4, vcc_lo
	v_cmp_eq_u32_e32 vcc_lo, s9, v3
	v_cndmask_b32_e32 v3, v10, v7, vcc_lo
	v_cmp_ne_u32_e32 vcc_lo, 0, v6
	v_cndmask_b32_e32 v4, v5, v8, vcc_lo
	s_delay_alu instid0(VALU_DEP_3) | instskip(NEXT) | instid1(VALU_DEP_2)
	v_cmp_ne_u32_e32 vcc_lo, 0, v3
	v_cndmask_b32_e32 v2, v2, v4, vcc_lo
                                        ; implicit-def: $vgpr4_vgpr5
.LBB8_7:
	s_and_not1_saveexec_b32 s2, s3
	s_cbranch_execz .LBB8_9
; %bb.8:
	v_cvt_f32_u32_e32 v2, s8
	s_sub_co_i32 s3, 0, s8
	s_delay_alu instid0(VALU_DEP_1) | instskip(SKIP_1) | instid1(TRANS32_DEP_1)
	v_rcp_iflag_f32_e32 v2, v2
	v_nop
	v_mul_f32_e32 v2, 0x4f7ffffe, v2
	s_delay_alu instid0(VALU_DEP_1) | instskip(NEXT) | instid1(VALU_DEP_1)
	v_cvt_u32_f32_e32 v2, v2
	v_mul_lo_u32 v3, s3, v2
	s_delay_alu instid0(VALU_DEP_1) | instskip(NEXT) | instid1(VALU_DEP_1)
	v_mul_hi_u32 v3, v2, v3
	v_add_nc_u32_e32 v2, v2, v3
	s_delay_alu instid0(VALU_DEP_1) | instskip(NEXT) | instid1(VALU_DEP_1)
	v_mul_hi_u32 v2, v4, v2
	v_mul_lo_u32 v2, v2, s8
	s_delay_alu instid0(VALU_DEP_1) | instskip(NEXT) | instid1(VALU_DEP_1)
	v_sub_nc_u32_e32 v2, v4, v2
	v_subrev_nc_u32_e32 v3, s8, v2
	v_cmp_le_u32_e32 vcc_lo, s8, v2
	s_delay_alu instid0(VALU_DEP_2) | instskip(NEXT) | instid1(VALU_DEP_1)
	v_cndmask_b32_e32 v2, v2, v3, vcc_lo
	v_subrev_nc_u32_e32 v3, s8, v2
	v_cmp_le_u32_e32 vcc_lo, s8, v2
	s_delay_alu instid0(VALU_DEP_2)
	v_cndmask_b32_e32 v2, v2, v3, vcc_lo
.LBB8_9:
	s_or_b32 exec_lo, exec_lo, s2
	v_dual_mov_b32 v6, 0 :: v_dual_bitop2_b32 v7, s21, v1 bitop3:0x54
	s_cvt_f32_u32 s29, s20
	s_cvt_f32_u32 s30, s21
	s_sub_nc_u64 s[26:27], 0, s[20:21]
                                        ; implicit-def: $vgpr4_vgpr5
	s_mov_b32 s2, exec_lo
	v_cmpx_ne_u64_e32 0, v[6:7]
	s_xor_b32 s3, exec_lo, s2
	s_cbranch_execz .LBB8_11
; %bb.10:
	s_fmamk_f32 s2, s30, 0x4f800000, s29
	s_mov_b32 s37, 0
	v_dual_mov_b32 v4, v0 :: v_dual_mov_b32 v5, v6
	s_delay_alu instid0(SALU_CYCLE_1) | instskip(SKIP_2) | instid1(TRANS32_DEP_1)
	v_s_rcp_f32 s2, s2
	v_dual_mov_b32 v8, v1 :: v_dual_mov_b32 v9, v6
	v_dual_mov_b32 v13, v6 :: v_dual_mov_b32 v7, v6
	s_mul_f32 s2, s2, 0x5f7ffffc
	s_delay_alu instid0(SALU_CYCLE_3) | instskip(NEXT) | instid1(SALU_CYCLE_3)
	s_mul_f32 s24, s2, 0x2f800000
	s_trunc_f32 s24, s24
	s_delay_alu instid0(SALU_CYCLE_3) | instskip(SKIP_1) | instid1(SALU_CYCLE_2)
	s_fmamk_f32 s2, s24, 0xcf800000, s2
	s_cvt_u32_f32 s25, s24
	s_cvt_u32_f32 s24, s2
	s_delay_alu instid0(SALU_CYCLE_3) | instskip(NEXT) | instid1(SALU_CYCLE_1)
	s_mul_u64 s[34:35], s[26:27], s[24:25]
	s_mul_hi_u32 s39, s24, s35
	s_mul_i32 s38, s24, s35
	s_mul_hi_u32 s36, s24, s34
	s_mul_i32 s28, s25, s34
	s_add_nc_u64 s[38:39], s[36:37], s[38:39]
	s_mul_hi_u32 s2, s25, s34
	s_mul_hi_u32 s31, s25, s35
	s_add_co_u32 s28, s38, s28
	s_add_co_ci_u32 s36, s39, s2
	s_mul_i32 s34, s25, s35
	s_add_co_ci_u32 s35, s31, 0
	s_delay_alu instid0(SALU_CYCLE_1) | instskip(NEXT) | instid1(SALU_CYCLE_1)
	s_add_nc_u64 s[34:35], s[36:37], s[34:35]
	s_add_co_u32 s24, s24, s34
	s_cselect_b32 s2, -1, 0
	s_delay_alu instid0(SALU_CYCLE_1) | instskip(SKIP_1) | instid1(SALU_CYCLE_1)
	s_cmp_lg_u32 s2, 0
	s_add_co_ci_u32 s25, s25, s35
	s_mul_u64 s[34:35], s[26:27], s[24:25]
	s_delay_alu instid0(SALU_CYCLE_1)
	s_mul_hi_u32 s39, s24, s35
	s_mul_i32 s38, s24, s35
	s_mul_hi_u32 s36, s24, s34
	s_mul_i32 s28, s25, s34
	s_add_nc_u64 s[38:39], s[36:37], s[38:39]
	s_mul_hi_u32 s2, s25, s34
	s_mul_hi_u32 s31, s25, s35
	s_add_co_u32 s28, s38, s28
	s_add_co_ci_u32 s36, s39, s2
	s_mul_i32 s34, s25, s35
	s_add_co_ci_u32 s35, s31, 0
	s_delay_alu instid0(SALU_CYCLE_1) | instskip(NEXT) | instid1(SALU_CYCLE_1)
	s_add_nc_u64 s[34:35], s[36:37], s[34:35]
	s_add_co_u32 s2, s24, s34
	s_cselect_b32 s24, -1, 0
	v_mul_hi_u32 v12, v0, s2
	s_cmp_lg_u32 s24, 0
	s_add_co_ci_u32 s36, s25, s35
	s_mov_b64 s[24:25], 0xffffffff
	v_mul_u64_e32 v[4:5], s[36:37], v[4:5]
	s_and_b64 s[24:25], s[2:3], s[24:25]
	s_delay_alu instid0(SALU_CYCLE_1) | instskip(SKIP_1) | instid1(VALU_DEP_3)
	v_mul_u64_e32 v[10:11], s[24:25], v[8:9]
	v_mul_u64_e32 v[8:9], s[36:37], v[8:9]
	v_add_nc_u64_e32 v[4:5], v[12:13], v[4:5]
	s_delay_alu instid0(VALU_DEP_1) | instskip(NEXT) | instid1(VALU_DEP_2)
	v_add_co_u32 v3, vcc_lo, v4, v10
	v_add_co_ci_u32_e32 v6, vcc_lo, v5, v11, vcc_lo
	s_delay_alu instid0(VALU_DEP_4) | instskip(NEXT) | instid1(VALU_DEP_1)
	v_add_co_ci_u32_e32 v9, vcc_lo, 0, v9, vcc_lo
	v_add_nc_u64_e32 v[4:5], v[6:7], v[8:9]
	s_delay_alu instid0(VALU_DEP_1) | instskip(SKIP_1) | instid1(VALU_DEP_2)
	v_mul_u64_e32 v[6:7], s[20:21], v[4:5]
	v_add_nc_u64_e32 v[8:9], 2, v[4:5]
	v_sub_nc_u32_e32 v3, v1, v7
	s_delay_alu instid0(VALU_DEP_3) | instskip(NEXT) | instid1(VALU_DEP_1)
	v_sub_co_u32 v6, vcc_lo, v0, v6
	v_sub_co_ci_u32_e64 v12, null, v1, v7, vcc_lo
	s_delay_alu instid0(VALU_DEP_3) | instskip(NEXT) | instid1(VALU_DEP_3)
	v_subrev_co_ci_u32_e64 v3, null, s21, v3, vcc_lo
	v_sub_co_u32 v10, s2, v6, s20
	v_cmp_le_u32_e32 vcc_lo, s20, v6
	s_delay_alu instid0(VALU_DEP_3) | instskip(NEXT) | instid1(VALU_DEP_3)
	v_subrev_co_ci_u32_e64 v3, null, 0, v3, s2
	v_cmp_le_u32_e64 s2, s20, v10
	v_add_nc_u64_e32 v[6:7], 1, v[4:5]
	v_cndmask_b32_e64 v13, 0, -1, vcc_lo
	s_delay_alu instid0(VALU_DEP_4) | instskip(NEXT) | instid1(VALU_DEP_4)
	v_cmp_eq_u32_e32 vcc_lo, s21, v3
	v_cndmask_b32_e64 v10, 0, -1, s2
	v_cmp_le_u32_e64 s2, s21, v3
	s_delay_alu instid0(VALU_DEP_1) | instskip(SKIP_1) | instid1(VALU_DEP_2)
	v_cndmask_b32_e64 v11, 0, -1, s2
	v_cmp_eq_u32_e64 s2, s21, v12
	v_cndmask_b32_e32 v3, v11, v10, vcc_lo
	v_cmp_le_u32_e32 vcc_lo, s21, v12
	v_cndmask_b32_e64 v10, 0, -1, vcc_lo
	s_delay_alu instid0(VALU_DEP_3) | instskip(SKIP_1) | instid1(VALU_DEP_3)
	v_cmp_ne_u32_e32 vcc_lo, 0, v3
	v_cndmask_b32_e32 v7, v7, v9, vcc_lo
	v_cndmask_b32_e64 v3, v10, v13, s2
	v_cndmask_b32_e32 v6, v6, v8, vcc_lo
	s_delay_alu instid0(VALU_DEP_2) | instskip(NEXT) | instid1(VALU_DEP_2)
	v_cmp_ne_u32_e32 vcc_lo, 0, v3
	v_dual_cndmask_b32 v5, v5, v7 :: v_dual_cndmask_b32 v4, v4, v6
.LBB8_11:
	s_or_saveexec_b32 s2, s3
	v_cvt_f32_u32_e32 v12, s20
	s_xor_b32 exec_lo, exec_lo, s2
	s_cbranch_execz .LBB8_13
; %bb.12:
	s_delay_alu instid0(VALU_DEP_1) | instskip(SKIP_2) | instid1(TRANS32_DEP_1)
	v_rcp_iflag_f32_e32 v3, v12
	s_sub_co_i32 s3, 0, s20
	v_nop
	v_mul_f32_e32 v3, 0x4f7ffffe, v3
	s_delay_alu instid0(VALU_DEP_1) | instskip(NEXT) | instid1(VALU_DEP_1)
	v_cvt_u32_f32_e32 v3, v3
	v_mul_lo_u32 v4, s3, v3
	s_delay_alu instid0(VALU_DEP_1) | instskip(NEXT) | instid1(VALU_DEP_1)
	v_mul_hi_u32 v4, v3, v4
	v_add_nc_u32_e32 v3, v3, v4
	s_delay_alu instid0(VALU_DEP_1) | instskip(NEXT) | instid1(VALU_DEP_1)
	v_mul_hi_u32 v3, v0, v3
	v_mul_lo_u32 v4, v3, s20
	s_delay_alu instid0(VALU_DEP_1) | instskip(NEXT) | instid1(VALU_DEP_1)
	v_dual_add_nc_u32 v5, 1, v3 :: v_dual_sub_nc_u32 v4, v0, v4
	v_subrev_nc_u32_e32 v6, s20, v4
	v_cmp_le_u32_e32 vcc_lo, s20, v4
	s_delay_alu instid0(VALU_DEP_2) | instskip(NEXT) | instid1(VALU_DEP_1)
	v_dual_cndmask_b32 v4, v4, v6 :: v_dual_cndmask_b32 v3, v3, v5
	v_cmp_le_u32_e32 vcc_lo, s20, v4
	s_delay_alu instid0(VALU_DEP_2) | instskip(NEXT) | instid1(VALU_DEP_1)
	v_add_nc_u32_e32 v5, 1, v3
	v_dual_cndmask_b32 v4, v3, v5 :: v_dual_mov_b32 v5, 0
.LBB8_13:
	s_or_b32 exec_lo, exec_lo, s2
	v_dual_mov_b32 v8, 0 :: v_dual_bitop2_b32 v9, s19, v1 bitop3:0x54
	s_cvt_f32_u32 s3, s18
	s_cvt_f32_u32 s28, s19
	s_sub_nc_u64 s[24:25], 0, s[18:19]
                                        ; implicit-def: $vgpr6_vgpr7
	s_mov_b32 s2, exec_lo
	v_cmpx_ne_u64_e32 0, v[8:9]
	s_xor_b32 s31, exec_lo, s2
	s_cbranch_execz .LBB8_15
; %bb.14:
	s_fmamk_f32 s2, s28, 0x4f800000, s3
	s_mov_b32 s39, 0
	v_dual_mov_b32 v6, v0 :: v_dual_mov_b32 v7, v8
	s_delay_alu instid0(SALU_CYCLE_1) | instskip(SKIP_2) | instid1(TRANS32_DEP_1)
	v_s_rcp_f32 s2, s2
	v_dual_mov_b32 v10, v1 :: v_dual_mov_b32 v11, v8
	v_dual_mov_b32 v17, v8 :: v_dual_mov_b32 v9, v8
	s_mul_f32 s2, s2, 0x5f7ffffc
	s_delay_alu instid0(SALU_CYCLE_3) | instskip(NEXT) | instid1(SALU_CYCLE_3)
	s_mul_f32 s33, s2, 0x2f800000
	s_trunc_f32 s33, s33
	s_delay_alu instid0(SALU_CYCLE_3) | instskip(SKIP_1) | instid1(SALU_CYCLE_2)
	s_fmamk_f32 s2, s33, 0xcf800000, s2
	s_cvt_u32_f32 s35, s33
	s_cvt_u32_f32 s34, s2
	s_delay_alu instid0(SALU_CYCLE_3) | instskip(NEXT) | instid1(SALU_CYCLE_1)
	s_mul_u64 s[36:37], s[24:25], s[34:35]
	s_mul_hi_u32 s41, s34, s37
	s_mul_i32 s40, s34, s37
	s_mul_hi_u32 s38, s34, s36
	s_mul_i32 s33, s35, s36
	s_add_nc_u64 s[40:41], s[38:39], s[40:41]
	s_mul_hi_u32 s2, s35, s36
	s_mul_hi_u32 s42, s35, s37
	s_add_co_u32 s33, s40, s33
	s_add_co_ci_u32 s38, s41, s2
	s_mul_i32 s36, s35, s37
	s_add_co_ci_u32 s37, s42, 0
	s_delay_alu instid0(SALU_CYCLE_1) | instskip(NEXT) | instid1(SALU_CYCLE_1)
	s_add_nc_u64 s[36:37], s[38:39], s[36:37]
	s_add_co_u32 s34, s34, s36
	s_cselect_b32 s2, -1, 0
	s_delay_alu instid0(SALU_CYCLE_1) | instskip(SKIP_1) | instid1(SALU_CYCLE_1)
	s_cmp_lg_u32 s2, 0
	s_add_co_ci_u32 s35, s35, s37
	s_mul_u64 s[36:37], s[24:25], s[34:35]
	s_delay_alu instid0(SALU_CYCLE_1)
	s_mul_hi_u32 s41, s34, s37
	s_mul_i32 s40, s34, s37
	s_mul_hi_u32 s38, s34, s36
	s_mul_i32 s33, s35, s36
	s_add_nc_u64 s[40:41], s[38:39], s[40:41]
	s_mul_hi_u32 s2, s35, s36
	s_mul_hi_u32 s42, s35, s37
	s_add_co_u32 s33, s40, s33
	s_add_co_ci_u32 s38, s41, s2
	s_mul_i32 s36, s35, s37
	s_add_co_ci_u32 s37, s42, 0
	s_delay_alu instid0(SALU_CYCLE_1) | instskip(NEXT) | instid1(SALU_CYCLE_1)
	s_add_nc_u64 s[36:37], s[38:39], s[36:37]
	s_add_co_u32 s2, s34, s36
	s_cselect_b32 s33, -1, 0
	v_mul_hi_u32 v16, v0, s2
	s_cmp_lg_u32 s33, 0
	s_add_co_ci_u32 s38, s35, s37
	s_mov_b64 s[34:35], 0xffffffff
	v_mul_u64_e32 v[6:7], s[38:39], v[6:7]
	s_and_b64 s[34:35], s[2:3], s[34:35]
	s_delay_alu instid0(SALU_CYCLE_1) | instskip(SKIP_1) | instid1(VALU_DEP_3)
	v_mul_u64_e32 v[14:15], s[34:35], v[10:11]
	v_mul_u64_e32 v[10:11], s[38:39], v[10:11]
	v_add_nc_u64_e32 v[6:7], v[16:17], v[6:7]
	s_delay_alu instid0(VALU_DEP_1) | instskip(NEXT) | instid1(VALU_DEP_2)
	v_add_co_u32 v3, vcc_lo, v6, v14
	v_add_co_ci_u32_e32 v8, vcc_lo, v7, v15, vcc_lo
	s_delay_alu instid0(VALU_DEP_4) | instskip(NEXT) | instid1(VALU_DEP_1)
	v_add_co_ci_u32_e32 v11, vcc_lo, 0, v11, vcc_lo
	v_add_nc_u64_e32 v[6:7], v[8:9], v[10:11]
	s_delay_alu instid0(VALU_DEP_1) | instskip(SKIP_1) | instid1(VALU_DEP_2)
	v_mul_u64_e32 v[8:9], s[18:19], v[6:7]
	v_add_nc_u64_e32 v[10:11], 2, v[6:7]
	v_sub_nc_u32_e32 v3, v1, v9
	s_delay_alu instid0(VALU_DEP_3) | instskip(NEXT) | instid1(VALU_DEP_1)
	v_sub_co_u32 v8, vcc_lo, v0, v8
	v_sub_co_ci_u32_e64 v15, null, v1, v9, vcc_lo
	s_delay_alu instid0(VALU_DEP_3) | instskip(NEXT) | instid1(VALU_DEP_3)
	v_subrev_co_ci_u32_e64 v3, null, s19, v3, vcc_lo
	v_sub_co_u32 v13, s2, v8, s18
	v_cmp_le_u32_e32 vcc_lo, s18, v8
	s_delay_alu instid0(VALU_DEP_3) | instskip(NEXT) | instid1(VALU_DEP_3)
	v_subrev_co_ci_u32_e64 v3, null, 0, v3, s2
	v_cmp_le_u32_e64 s2, s18, v13
	v_add_nc_u64_e32 v[8:9], 1, v[6:7]
	v_cndmask_b32_e64 v16, 0, -1, vcc_lo
	s_delay_alu instid0(VALU_DEP_4) | instskip(NEXT) | instid1(VALU_DEP_4)
	v_cmp_eq_u32_e32 vcc_lo, s19, v3
	v_cndmask_b32_e64 v13, 0, -1, s2
	v_cmp_le_u32_e64 s2, s19, v3
	s_delay_alu instid0(VALU_DEP_1) | instskip(SKIP_1) | instid1(VALU_DEP_2)
	v_cndmask_b32_e64 v14, 0, -1, s2
	v_cmp_eq_u32_e64 s2, s19, v15
	v_cndmask_b32_e32 v3, v14, v13, vcc_lo
	v_cmp_le_u32_e32 vcc_lo, s19, v15
	v_cndmask_b32_e64 v13, 0, -1, vcc_lo
	s_delay_alu instid0(VALU_DEP_3) | instskip(SKIP_1) | instid1(VALU_DEP_3)
	v_cmp_ne_u32_e32 vcc_lo, 0, v3
	v_cndmask_b32_e32 v9, v9, v11, vcc_lo
	v_dual_cndmask_b32 v3, v13, v16, s2 :: v_dual_cndmask_b32 v8, v8, v10, vcc_lo
	s_delay_alu instid0(VALU_DEP_1) | instskip(NEXT) | instid1(VALU_DEP_2)
	v_cmp_ne_u32_e32 vcc_lo, 0, v3
	v_dual_cndmask_b32 v7, v7, v9 :: v_dual_cndmask_b32 v6, v6, v8
.LBB8_15:
	s_or_saveexec_b32 s2, s31
	v_cvt_f32_u32_e32 v3, s18
	s_xor_b32 exec_lo, exec_lo, s2
	s_cbranch_execz .LBB8_17
; %bb.16:
	s_delay_alu instid0(VALU_DEP_1) | instskip(SKIP_2) | instid1(TRANS32_DEP_1)
	v_rcp_iflag_f32_e32 v6, v3
	s_sub_co_i32 s31, 0, s18
	v_nop
	v_mul_f32_e32 v6, 0x4f7ffffe, v6
	s_delay_alu instid0(VALU_DEP_1) | instskip(NEXT) | instid1(VALU_DEP_1)
	v_cvt_u32_f32_e32 v6, v6
	v_mul_lo_u32 v7, s31, v6
	s_delay_alu instid0(VALU_DEP_1) | instskip(NEXT) | instid1(VALU_DEP_1)
	v_mul_hi_u32 v7, v6, v7
	v_add_nc_u32_e32 v6, v6, v7
	s_delay_alu instid0(VALU_DEP_1) | instskip(NEXT) | instid1(VALU_DEP_1)
	v_mul_hi_u32 v6, v0, v6
	v_mul_lo_u32 v7, v6, s18
	s_delay_alu instid0(VALU_DEP_1) | instskip(NEXT) | instid1(VALU_DEP_1)
	v_dual_add_nc_u32 v8, 1, v6 :: v_dual_sub_nc_u32 v7, v0, v7
	v_subrev_nc_u32_e32 v9, s18, v7
	v_cmp_le_u32_e32 vcc_lo, s18, v7
	s_delay_alu instid0(VALU_DEP_2) | instskip(NEXT) | instid1(VALU_DEP_1)
	v_dual_cndmask_b32 v7, v7, v9 :: v_dual_cndmask_b32 v6, v6, v8
	v_cmp_le_u32_e32 vcc_lo, s18, v7
	s_delay_alu instid0(VALU_DEP_2) | instskip(NEXT) | instid1(VALU_DEP_1)
	v_dual_mov_b32 v7, 0 :: v_dual_add_nc_u32 v8, 1, v6
	v_cndmask_b32_e32 v6, v6, v8, vcc_lo
.LBB8_17:
	s_or_b32 exec_lo, exec_lo, s2
	s_delay_alu instid0(VALU_DEP_2) | instskip(SKIP_1) | instid1(VALU_DEP_1)
	v_dual_mov_b32 v10, 0 :: v_dual_bitop2_b32 v11, s21, v7 bitop3:0x54
                                        ; implicit-def: $vgpr8_vgpr9
	s_mov_b32 s2, exec_lo
	v_cmpx_ne_u64_e32 0, v[10:11]
	s_xor_b32 s31, exec_lo, s2
	s_cbranch_execz .LBB8_19
; %bb.18:
	s_fmamk_f32 s2, s30, 0x4f800000, s29
	s_mov_b32 s39, 0
	v_dual_mov_b32 v8, v6 :: v_dual_mov_b32 v9, v10
	s_delay_alu instid0(SALU_CYCLE_1) | instskip(SKIP_2) | instid1(TRANS32_DEP_1)
	v_s_rcp_f32 s2, s2
	v_dual_mov_b32 v12, v7 :: v_dual_mov_b32 v13, v10
	v_dual_mov_b32 v17, v10 :: v_dual_mov_b32 v11, v10
	s_mul_f32 s2, s2, 0x5f7ffffc
	s_delay_alu instid0(SALU_CYCLE_3) | instskip(NEXT) | instid1(SALU_CYCLE_3)
	s_mul_f32 s29, s2, 0x2f800000
	s_trunc_f32 s29, s29
	s_delay_alu instid0(SALU_CYCLE_3) | instskip(SKIP_1) | instid1(SALU_CYCLE_2)
	s_fmamk_f32 s2, s29, 0xcf800000, s2
	s_cvt_u32_f32 s35, s29
	s_cvt_u32_f32 s34, s2
	s_delay_alu instid0(SALU_CYCLE_3) | instskip(NEXT) | instid1(SALU_CYCLE_1)
	s_mul_u64 s[36:37], s[26:27], s[34:35]
	s_mul_hi_u32 s41, s34, s37
	s_mul_i32 s40, s34, s37
	s_mul_hi_u32 s38, s34, s36
	s_mul_i32 s29, s35, s36
	s_add_nc_u64 s[40:41], s[38:39], s[40:41]
	s_mul_hi_u32 s2, s35, s36
	s_mul_hi_u32 s30, s35, s37
	s_add_co_u32 s29, s40, s29
	s_add_co_ci_u32 s38, s41, s2
	s_mul_i32 s36, s35, s37
	s_add_co_ci_u32 s37, s30, 0
	s_delay_alu instid0(SALU_CYCLE_1) | instskip(NEXT) | instid1(SALU_CYCLE_1)
	s_add_nc_u64 s[36:37], s[38:39], s[36:37]
	s_add_co_u32 s34, s34, s36
	s_cselect_b32 s2, -1, 0
	s_delay_alu instid0(SALU_CYCLE_1) | instskip(SKIP_1) | instid1(SALU_CYCLE_1)
	s_cmp_lg_u32 s2, 0
	s_add_co_ci_u32 s35, s35, s37
	s_mul_u64 s[26:27], s[26:27], s[34:35]
	s_delay_alu instid0(SALU_CYCLE_1)
	s_mul_hi_u32 s37, s34, s27
	s_mul_i32 s36, s34, s27
	s_mul_hi_u32 s38, s34, s26
	s_mul_i32 s29, s35, s26
	s_add_nc_u64 s[36:37], s[38:39], s[36:37]
	s_mul_hi_u32 s2, s35, s26
	s_mul_hi_u32 s30, s35, s27
	s_mul_i32 s26, s35, s27
	s_add_co_u32 s27, s36, s29
	s_add_co_ci_u32 s38, s37, s2
	s_add_co_ci_u32 s27, s30, 0
	s_delay_alu instid0(SALU_CYCLE_1) | instskip(NEXT) | instid1(SALU_CYCLE_1)
	s_add_nc_u64 s[26:27], s[38:39], s[26:27]
	s_add_co_u32 s2, s34, s26
	s_cselect_b32 s26, -1, 0
	v_mul_hi_u32 v16, v6, s2
	s_cmp_lg_u32 s26, 0
	s_add_co_ci_u32 s38, s35, s27
	s_mov_b64 s[26:27], 0xffffffff
	v_mul_u64_e32 v[8:9], s[38:39], v[8:9]
	s_and_b64 s[26:27], s[2:3], s[26:27]
	s_delay_alu instid0(SALU_CYCLE_1) | instskip(SKIP_1) | instid1(VALU_DEP_3)
	v_mul_u64_e32 v[14:15], s[26:27], v[12:13]
	v_mul_u64_e32 v[12:13], s[38:39], v[12:13]
	v_add_nc_u64_e32 v[8:9], v[16:17], v[8:9]
	s_delay_alu instid0(VALU_DEP_1) | instskip(NEXT) | instid1(VALU_DEP_2)
	v_add_co_u32 v8, vcc_lo, v8, v14
	v_add_co_ci_u32_e32 v10, vcc_lo, v9, v15, vcc_lo
	s_delay_alu instid0(VALU_DEP_4) | instskip(NEXT) | instid1(VALU_DEP_1)
	v_add_co_ci_u32_e32 v13, vcc_lo, 0, v13, vcc_lo
	v_add_nc_u64_e32 v[8:9], v[10:11], v[12:13]
	s_delay_alu instid0(VALU_DEP_1) | instskip(NEXT) | instid1(VALU_DEP_1)
	v_mul_u64_e32 v[10:11], s[20:21], v[8:9]
	v_sub_nc_u32_e32 v12, v7, v11
	s_delay_alu instid0(VALU_DEP_2) | instskip(NEXT) | instid1(VALU_DEP_1)
	v_sub_co_u32 v6, vcc_lo, v6, v10
	v_sub_co_ci_u32_e64 v11, null, v7, v11, vcc_lo
	s_delay_alu instid0(VALU_DEP_3) | instskip(NEXT) | instid1(VALU_DEP_3)
	v_subrev_co_ci_u32_e64 v10, null, s21, v12, vcc_lo
	v_sub_co_u32 v14, s2, v6, s20
	v_cmp_le_u32_e32 vcc_lo, s20, v6
	s_delay_alu instid0(VALU_DEP_3) | instskip(NEXT) | instid1(VALU_DEP_3)
	v_subrev_co_ci_u32_e64 v10, null, 0, v10, s2
	v_cmp_le_u32_e64 s2, s20, v14
	v_add_nc_u64_e32 v[12:13], 2, v[8:9]
	v_cndmask_b32_e64 v16, 0, -1, vcc_lo
	s_delay_alu instid0(VALU_DEP_4) | instskip(SKIP_3) | instid1(VALU_DEP_1)
	v_cmp_eq_u32_e32 vcc_lo, s21, v10
	v_add_nc_u64_e32 v[6:7], 1, v[8:9]
	v_cndmask_b32_e64 v14, 0, -1, s2
	v_cmp_le_u32_e64 s2, s21, v10
	v_cndmask_b32_e64 v15, 0, -1, s2
	v_cmp_eq_u32_e64 s2, s21, v11
	s_delay_alu instid0(VALU_DEP_2) | instskip(SKIP_2) | instid1(VALU_DEP_3)
	v_cndmask_b32_e32 v10, v15, v14, vcc_lo
	v_cmp_le_u32_e32 vcc_lo, s21, v11
	v_cndmask_b32_e64 v14, 0, -1, vcc_lo
	v_cmp_ne_u32_e32 vcc_lo, 0, v10
	s_delay_alu instid0(VALU_DEP_2) | instskip(SKIP_1) | instid1(VALU_DEP_2)
	v_cndmask_b32_e64 v10, v14, v16, s2
	v_dual_cndmask_b32 v6, v6, v12 :: v_dual_cndmask_b32 v7, v7, v13
                                        ; implicit-def: $vgpr12
	v_cmp_ne_u32_e32 vcc_lo, 0, v10
	s_delay_alu instid0(VALU_DEP_2)
	v_dual_cndmask_b32 v8, v8, v6 :: v_dual_cndmask_b32 v9, v9, v7
                                        ; implicit-def: $vgpr6_vgpr7
.LBB8_19:
	s_and_not1_saveexec_b32 s2, s31
	s_cbranch_execz .LBB8_21
; %bb.20:
	v_rcp_iflag_f32_e32 v7, v12
	s_sub_co_i32 s26, 0, s20
	v_nop
	s_delay_alu instid0(TRANS32_DEP_1) | instskip(NEXT) | instid1(VALU_DEP_1)
	v_mul_f32_e32 v7, 0x4f7ffffe, v7
	v_cvt_u32_f32_e32 v7, v7
	s_delay_alu instid0(VALU_DEP_1) | instskip(NEXT) | instid1(VALU_DEP_1)
	v_mul_lo_u32 v8, s26, v7
	v_mul_hi_u32 v8, v7, v8
	s_delay_alu instid0(VALU_DEP_1) | instskip(NEXT) | instid1(VALU_DEP_1)
	v_add_nc_u32_e32 v7, v7, v8
	v_mul_hi_u32 v7, v6, v7
	s_delay_alu instid0(VALU_DEP_1) | instskip(NEXT) | instid1(VALU_DEP_1)
	v_mul_lo_u32 v8, v7, s20
	v_dual_sub_nc_u32 v6, v6, v8 :: v_dual_add_nc_u32 v8, 1, v7
	s_delay_alu instid0(VALU_DEP_1) | instskip(SKIP_1) | instid1(VALU_DEP_2)
	v_subrev_nc_u32_e32 v9, s20, v6
	v_cmp_le_u32_e32 vcc_lo, s20, v6
	v_dual_cndmask_b32 v6, v6, v9 :: v_dual_mov_b32 v9, 0
	s_delay_alu instid0(VALU_DEP_4) | instskip(NEXT) | instid1(VALU_DEP_2)
	v_cndmask_b32_e32 v7, v7, v8, vcc_lo
	v_cmp_le_u32_e32 vcc_lo, s20, v6
	s_delay_alu instid0(VALU_DEP_2) | instskip(NEXT) | instid1(VALU_DEP_1)
	v_add_nc_u32_e32 v8, 1, v7
	v_cndmask_b32_e32 v8, v7, v8, vcc_lo
.LBB8_21:
	s_or_b32 exec_lo, exec_lo, s2
	s_delay_alu instid0(VALU_DEP_1) | instskip(SKIP_1) | instid1(VALU_DEP_1)
	v_dual_mov_b32 v10, 0 :: v_dual_bitop2_b32 v11, s17, v9 bitop3:0x54
                                        ; implicit-def: $vgpr6_vgpr7
	s_mov_b32 s2, exec_lo
	v_cmpx_ne_u64_e32 0, v[10:11]
	s_xor_b32 s26, exec_lo, s2
	s_cbranch_execz .LBB8_23
; %bb.22:
	s_cvt_f32_u32 s2, s16
	s_cvt_f32_u32 s27, s17
	s_sub_nc_u64 s[34:35], 0, s[16:17]
	s_mov_b32 s39, 0
	v_dual_mov_b32 v6, v8 :: v_dual_mov_b32 v7, v10
	s_fmamk_f32 s2, s27, 0x4f800000, s2
	v_dual_mov_b32 v12, v9 :: v_dual_mov_b32 v13, v10
	v_dual_mov_b32 v17, v10 :: v_dual_mov_b32 v11, v10
	s_delay_alu instid0(SALU_CYCLE_1) | instskip(NEXT) | instid1(TRANS32_DEP_1)
	v_s_rcp_f32 s2, s2
	s_mul_f32 s2, s2, 0x5f7ffffc
	s_delay_alu instid0(SALU_CYCLE_3) | instskip(NEXT) | instid1(SALU_CYCLE_3)
	s_mul_f32 s27, s2, 0x2f800000
	s_trunc_f32 s27, s27
	s_delay_alu instid0(SALU_CYCLE_3) | instskip(SKIP_1) | instid1(SALU_CYCLE_2)
	s_fmamk_f32 s2, s27, 0xcf800000, s2
	s_cvt_u32_f32 s31, s27
	s_cvt_u32_f32 s30, s2
	s_delay_alu instid0(SALU_CYCLE_3) | instskip(NEXT) | instid1(SALU_CYCLE_1)
	s_mul_u64 s[36:37], s[34:35], s[30:31]
	s_mul_hi_u32 s41, s30, s37
	s_mul_i32 s40, s30, s37
	s_mul_hi_u32 s38, s30, s36
	s_mul_i32 s27, s31, s36
	s_add_nc_u64 s[40:41], s[38:39], s[40:41]
	s_mul_hi_u32 s2, s31, s36
	s_mul_hi_u32 s29, s31, s37
	s_add_co_u32 s27, s40, s27
	s_add_co_ci_u32 s38, s41, s2
	s_mul_i32 s36, s31, s37
	s_add_co_ci_u32 s37, s29, 0
	s_delay_alu instid0(SALU_CYCLE_1) | instskip(NEXT) | instid1(SALU_CYCLE_1)
	s_add_nc_u64 s[36:37], s[38:39], s[36:37]
	s_add_co_u32 s30, s30, s36
	s_cselect_b32 s2, -1, 0
	s_delay_alu instid0(SALU_CYCLE_1) | instskip(SKIP_1) | instid1(SALU_CYCLE_1)
	s_cmp_lg_u32 s2, 0
	s_add_co_ci_u32 s31, s31, s37
	s_mul_u64 s[34:35], s[34:35], s[30:31]
	s_delay_alu instid0(SALU_CYCLE_1)
	s_mul_hi_u32 s37, s30, s35
	s_mul_i32 s36, s30, s35
	s_mul_hi_u32 s38, s30, s34
	s_mul_i32 s27, s31, s34
	s_add_nc_u64 s[36:37], s[38:39], s[36:37]
	s_mul_hi_u32 s2, s31, s34
	s_mul_hi_u32 s29, s31, s35
	s_add_co_u32 s27, s36, s27
	s_add_co_ci_u32 s38, s37, s2
	s_mul_i32 s34, s31, s35
	s_add_co_ci_u32 s35, s29, 0
	s_delay_alu instid0(SALU_CYCLE_1) | instskip(NEXT) | instid1(SALU_CYCLE_1)
	s_add_nc_u64 s[34:35], s[38:39], s[34:35]
	s_add_co_u32 s2, s30, s34
	s_cselect_b32 s27, -1, 0
	v_nop
	v_mul_hi_u32 v16, v8, s2
	s_cmp_lg_u32 s27, 0
	s_add_co_ci_u32 s38, s31, s35
	s_mov_b64 s[30:31], 0xffffffff
	v_mul_u64_e32 v[6:7], s[38:39], v[6:7]
	s_and_b64 s[30:31], s[2:3], s[30:31]
	s_delay_alu instid0(SALU_CYCLE_1) | instskip(SKIP_1) | instid1(VALU_DEP_3)
	v_mul_u64_e32 v[14:15], s[30:31], v[12:13]
	v_mul_u64_e32 v[12:13], s[38:39], v[12:13]
	v_add_nc_u64_e32 v[6:7], v[16:17], v[6:7]
	s_delay_alu instid0(VALU_DEP_1) | instskip(NEXT) | instid1(VALU_DEP_2)
	v_add_co_u32 v6, vcc_lo, v6, v14
	v_add_co_ci_u32_e32 v10, vcc_lo, v7, v15, vcc_lo
	s_delay_alu instid0(VALU_DEP_4) | instskip(NEXT) | instid1(VALU_DEP_1)
	v_add_co_ci_u32_e32 v13, vcc_lo, 0, v13, vcc_lo
	v_add_nc_u64_e32 v[6:7], v[10:11], v[12:13]
	s_delay_alu instid0(VALU_DEP_1) | instskip(NEXT) | instid1(VALU_DEP_1)
	v_mul_u64_e32 v[6:7], s[16:17], v[6:7]
	v_sub_nc_u32_e32 v10, v9, v7
	s_delay_alu instid0(VALU_DEP_2) | instskip(NEXT) | instid1(VALU_DEP_1)
	v_sub_co_u32 v6, vcc_lo, v8, v6
	v_sub_co_ci_u32_e64 v7, null, v9, v7, vcc_lo
	s_delay_alu instid0(VALU_DEP_3) | instskip(NEXT) | instid1(VALU_DEP_3)
	v_subrev_co_ci_u32_e64 v8, null, s17, v10, vcc_lo
	v_sub_co_u32 v9, vcc_lo, v6, s16
	v_cmp_le_u32_e64 s2, s16, v6
	s_delay_alu instid0(VALU_DEP_3) | instskip(SKIP_1) | instid1(VALU_DEP_3)
	v_subrev_co_ci_u32_e64 v10, null, 0, v8, vcc_lo
	v_subrev_co_ci_u32_e64 v8, null, s17, v8, vcc_lo
	v_cndmask_b32_e64 v11, 0, -1, s2
	v_cmp_le_u32_e64 s2, s16, v9
	v_cmp_le_u32_e32 vcc_lo, s17, v7
	s_delay_alu instid0(VALU_DEP_2) | instskip(SKIP_3) | instid1(VALU_DEP_3)
	v_cndmask_b32_e64 v12, 0, -1, s2
	v_cmp_le_u32_e64 s2, s17, v10
	v_cndmask_b32_e64 v14, 0, -1, vcc_lo
	v_cmp_eq_u32_e32 vcc_lo, s17, v10
	v_cndmask_b32_e64 v13, 0, -1, s2
	s_delay_alu instid0(VALU_DEP_1) | instskip(SKIP_1) | instid1(VALU_DEP_1)
	v_cndmask_b32_e32 v10, v13, v12, vcc_lo
	v_sub_co_u32 v12, vcc_lo, v9, s16
	v_subrev_co_ci_u32_e64 v8, null, 0, v8, vcc_lo
	v_cmp_eq_u32_e32 vcc_lo, s17, v7
	v_cndmask_b32_e32 v7, v14, v11, vcc_lo
	v_cmp_ne_u32_e32 vcc_lo, 0, v10
	v_cndmask_b32_e32 v8, v9, v12, vcc_lo
	s_delay_alu instid0(VALU_DEP_3) | instskip(NEXT) | instid1(VALU_DEP_2)
	v_cmp_ne_u32_e32 vcc_lo, 0, v7
	v_cndmask_b32_e32 v6, v6, v8, vcc_lo
                                        ; implicit-def: $vgpr8_vgpr9
.LBB8_23:
	s_and_not1_saveexec_b32 s2, s26
	s_cbranch_execz .LBB8_25
; %bb.24:
	v_cvt_f32_u32_e32 v6, s16
	s_sub_co_i32 s26, 0, s16
	s_delay_alu instid0(VALU_DEP_1) | instskip(SKIP_1) | instid1(TRANS32_DEP_1)
	v_rcp_iflag_f32_e32 v6, v6
	v_nop
	v_mul_f32_e32 v6, 0x4f7ffffe, v6
	s_delay_alu instid0(VALU_DEP_1) | instskip(NEXT) | instid1(VALU_DEP_1)
	v_cvt_u32_f32_e32 v6, v6
	v_mul_lo_u32 v7, s26, v6
	s_delay_alu instid0(VALU_DEP_1) | instskip(NEXT) | instid1(VALU_DEP_1)
	v_mul_hi_u32 v7, v6, v7
	v_add_nc_u32_e32 v6, v6, v7
	s_delay_alu instid0(VALU_DEP_1) | instskip(NEXT) | instid1(VALU_DEP_1)
	v_mul_hi_u32 v6, v8, v6
	v_mul_lo_u32 v6, v6, s16
	s_delay_alu instid0(VALU_DEP_1) | instskip(NEXT) | instid1(VALU_DEP_1)
	v_sub_nc_u32_e32 v6, v8, v6
	v_subrev_nc_u32_e32 v7, s16, v6
	v_cmp_le_u32_e32 vcc_lo, s16, v6
	s_delay_alu instid0(VALU_DEP_2) | instskip(NEXT) | instid1(VALU_DEP_1)
	v_cndmask_b32_e32 v6, v6, v7, vcc_lo
	v_subrev_nc_u32_e32 v7, s16, v6
	v_cmp_le_u32_e32 vcc_lo, s16, v6
	s_delay_alu instid0(VALU_DEP_2)
	v_cndmask_b32_e32 v6, v6, v7, vcc_lo
.LBB8_25:
	s_or_b32 exec_lo, exec_lo, s2
	v_dual_mov_b32 v8, 0 :: v_dual_bitop2_b32 v9, s19, v5 bitop3:0x54
                                        ; implicit-def: $vgpr10_vgpr11
	s_mov_b32 s2, exec_lo
	s_delay_alu instid0(VALU_DEP_1)
	v_cmpx_ne_u64_e32 0, v[8:9]
	s_xor_b32 s26, exec_lo, s2
	s_cbranch_execz .LBB8_27
; %bb.26:
	s_fmamk_f32 s2, s28, 0x4f800000, s3
	s_mov_b32 s31, 0
	v_dual_mov_b32 v10, v4 :: v_dual_mov_b32 v11, v8
	s_delay_alu instid0(SALU_CYCLE_1) | instskip(SKIP_2) | instid1(TRANS32_DEP_1)
	v_s_rcp_f32 s2, s2
	v_dual_mov_b32 v12, v5 :: v_dual_mov_b32 v13, v8
	v_dual_mov_b32 v17, v8 :: v_dual_mov_b32 v9, v8
	s_mul_f32 s2, s2, 0x5f7ffffc
	s_delay_alu instid0(SALU_CYCLE_3) | instskip(NEXT) | instid1(SALU_CYCLE_3)
	s_mul_f32 s3, s2, 0x2f800000
	s_trunc_f32 s3, s3
	s_delay_alu instid0(SALU_CYCLE_3) | instskip(SKIP_1) | instid1(SALU_CYCLE_2)
	s_fmamk_f32 s2, s3, 0xcf800000, s2
	s_cvt_u32_f32 s3, s3
	s_cvt_u32_f32 s2, s2
	s_delay_alu instid0(SALU_CYCLE_3) | instskip(NEXT) | instid1(SALU_CYCLE_1)
	s_mul_u64 s[28:29], s[24:25], s[2:3]
	s_mul_hi_u32 s35, s2, s29
	s_mul_i32 s34, s2, s29
	s_mul_hi_u32 s30, s2, s28
	s_mul_i32 s33, s3, s28
	s_add_nc_u64 s[34:35], s[30:31], s[34:35]
	s_mul_hi_u32 s27, s3, s28
	s_mul_hi_u32 s36, s3, s29
	s_mul_i32 s28, s3, s29
	s_add_co_u32 s29, s34, s33
	s_add_co_ci_u32 s30, s35, s27
	s_add_co_ci_u32 s29, s36, 0
	s_delay_alu instid0(SALU_CYCLE_1) | instskip(NEXT) | instid1(SALU_CYCLE_1)
	s_add_nc_u64 s[28:29], s[30:31], s[28:29]
	s_add_co_u32 s2, s2, s28
	s_cselect_b32 s27, -1, 0
	s_delay_alu instid0(SALU_CYCLE_1) | instskip(SKIP_1) | instid1(SALU_CYCLE_1)
	s_cmp_lg_u32 s27, 0
	s_add_co_ci_u32 s3, s3, s29
	s_mul_u64 s[24:25], s[24:25], s[2:3]
	s_delay_alu instid0(SALU_CYCLE_1)
	s_mul_hi_u32 s29, s2, s25
	s_mul_i32 s28, s2, s25
	s_mul_hi_u32 s30, s2, s24
	s_mul_i32 s33, s3, s24
	s_add_nc_u64 s[28:29], s[30:31], s[28:29]
	s_mul_hi_u32 s27, s3, s24
	s_mul_hi_u32 s34, s3, s25
	s_mul_i32 s24, s3, s25
	s_add_co_u32 s25, s28, s33
	s_add_co_ci_u32 s30, s29, s27
	s_add_co_ci_u32 s25, s34, 0
	s_delay_alu instid0(SALU_CYCLE_1) | instskip(NEXT) | instid1(SALU_CYCLE_1)
	s_add_nc_u64 s[24:25], s[30:31], s[24:25]
	s_add_co_u32 s2, s2, s24
	s_cselect_b32 s24, -1, 0
	v_mul_hi_u32 v16, v4, s2
	s_cmp_lg_u32 s24, 0
	s_add_co_ci_u32 s30, s3, s25
	s_mov_b64 s[24:25], 0xffffffff
	v_mul_u64_e32 v[10:11], s[30:31], v[10:11]
	s_and_b64 s[24:25], s[2:3], s[24:25]
	s_delay_alu instid0(SALU_CYCLE_1) | instskip(SKIP_1) | instid1(VALU_DEP_3)
	v_mul_u64_e32 v[14:15], s[24:25], v[12:13]
	v_mul_u64_e32 v[12:13], s[30:31], v[12:13]
	v_add_nc_u64_e32 v[10:11], v[16:17], v[10:11]
	s_delay_alu instid0(VALU_DEP_1) | instskip(NEXT) | instid1(VALU_DEP_2)
	v_add_co_u32 v3, vcc_lo, v10, v14
	v_add_co_ci_u32_e32 v8, vcc_lo, v11, v15, vcc_lo
	s_delay_alu instid0(VALU_DEP_4) | instskip(NEXT) | instid1(VALU_DEP_1)
	v_add_co_ci_u32_e32 v13, vcc_lo, 0, v13, vcc_lo
	v_add_nc_u64_e32 v[8:9], v[8:9], v[12:13]
	s_delay_alu instid0(VALU_DEP_1) | instskip(NEXT) | instid1(VALU_DEP_1)
	v_mul_u64_e32 v[8:9], s[18:19], v[8:9]
	v_sub_nc_u32_e32 v3, v5, v9
	s_delay_alu instid0(VALU_DEP_2) | instskip(NEXT) | instid1(VALU_DEP_1)
	v_sub_co_u32 v7, vcc_lo, v4, v8
	v_sub_co_ci_u32_e64 v5, null, v5, v9, vcc_lo
	s_delay_alu instid0(VALU_DEP_3) | instskip(NEXT) | instid1(VALU_DEP_3)
	v_subrev_co_ci_u32_e64 v3, null, s19, v3, vcc_lo
	v_sub_co_u32 v8, vcc_lo, v7, s18
	v_cmp_le_u32_e64 s2, s18, v7
	s_delay_alu instid0(VALU_DEP_3) | instskip(SKIP_1) | instid1(VALU_DEP_3)
	v_subrev_co_ci_u32_e64 v9, null, 0, v3, vcc_lo
	v_subrev_co_ci_u32_e64 v3, null, s19, v3, vcc_lo
	v_cndmask_b32_e64 v10, 0, -1, s2
	v_cmp_le_u32_e64 s2, s18, v8
	v_cmp_le_u32_e32 vcc_lo, s19, v5
	s_delay_alu instid0(VALU_DEP_2) | instskip(SKIP_3) | instid1(VALU_DEP_3)
	v_cndmask_b32_e64 v11, 0, -1, s2
	v_cmp_le_u32_e64 s2, s19, v9
	v_cndmask_b32_e64 v13, 0, -1, vcc_lo
	v_cmp_eq_u32_e32 vcc_lo, s19, v9
	v_cndmask_b32_e64 v12, 0, -1, s2
	s_delay_alu instid0(VALU_DEP_1) | instskip(SKIP_1) | instid1(VALU_DEP_1)
	v_cndmask_b32_e32 v9, v12, v11, vcc_lo
	v_sub_co_u32 v11, vcc_lo, v8, s18
	v_subrev_co_ci_u32_e64 v3, null, 0, v3, vcc_lo
	v_cmp_eq_u32_e32 vcc_lo, s19, v5
	v_cndmask_b32_e32 v3, v13, v10, vcc_lo
	v_cmp_ne_u32_e32 vcc_lo, 0, v9
	v_cndmask_b32_e32 v5, v8, v11, vcc_lo
	s_delay_alu instid0(VALU_DEP_3) | instskip(NEXT) | instid1(VALU_DEP_2)
	v_cmp_ne_u32_e32 vcc_lo, 0, v3
                                        ; implicit-def: $vgpr3
	v_cndmask_b32_e32 v10, v7, v5, vcc_lo
.LBB8_27:
	s_and_not1_saveexec_b32 s2, s26
	s_cbranch_execz .LBB8_29
; %bb.28:
	v_rcp_iflag_f32_e32 v3, v3
	s_sub_co_i32 s3, 0, s18
	v_nop
	s_delay_alu instid0(TRANS32_DEP_1) | instskip(NEXT) | instid1(VALU_DEP_1)
	v_mul_f32_e32 v3, 0x4f7ffffe, v3
	v_cvt_u32_f32_e32 v3, v3
	s_delay_alu instid0(VALU_DEP_1) | instskip(NEXT) | instid1(VALU_DEP_1)
	v_mul_lo_u32 v5, s3, v3
	v_mul_hi_u32 v5, v3, v5
	s_delay_alu instid0(VALU_DEP_1) | instskip(NEXT) | instid1(VALU_DEP_1)
	v_add_nc_u32_e32 v3, v3, v5
	v_mul_hi_u32 v3, v4, v3
	s_delay_alu instid0(VALU_DEP_1) | instskip(NEXT) | instid1(VALU_DEP_1)
	v_mul_lo_u32 v3, v3, s18
	v_sub_nc_u32_e32 v3, v4, v3
	s_delay_alu instid0(VALU_DEP_1) | instskip(SKIP_1) | instid1(VALU_DEP_2)
	v_subrev_nc_u32_e32 v5, s18, v3
	v_cmp_le_u32_e32 vcc_lo, s18, v3
	v_cndmask_b32_e32 v3, v3, v5, vcc_lo
	s_delay_alu instid0(VALU_DEP_1) | instskip(SKIP_1) | instid1(VALU_DEP_2)
	v_subrev_nc_u32_e32 v5, s18, v3
	v_cmp_le_u32_e32 vcc_lo, s18, v3
	v_cndmask_b32_e32 v10, v3, v5, vcc_lo
.LBB8_29:
	s_or_b32 exec_lo, exec_lo, s2
	v_mul_lo_u32 v3, v4, s20
	s_load_b96 s[0:2], s[0:1], 0x50
	s_delay_alu instid0(VALU_DEP_2) | instskip(SKIP_1) | instid1(VALU_DEP_2)
	v_cvt_f32_i32_e32 v4, v10
	v_cvt_f32_i32_e32 v5, v6
	v_dual_ashrrev_i32 v8, 31, v2 :: v_dual_add_f32 v4, 0.5, v4
	s_delay_alu instid0(VALU_DEP_2) | instskip(SKIP_1) | instid1(VALU_DEP_2)
	v_dual_add_f32 v5, 0.5, v5 :: v_dual_sub_nc_u32 v3, v0, v3
	v_lshl_add_u64 v[0:1], v[0:1], 1, s[22:23]
	v_cvt_f32_i32_e32 v3, v3
	s_wait_kmcnt 0x0
	s_delay_alu instid0(VALU_DEP_1) | instskip(SKIP_2) | instid1(VALU_DEP_2)
	v_dual_add_f32 v3, 0.5, v3 :: v_dual_mul_f32 v6, s1, v4
	v_mul_f32_e32 v5, s0, v5
	s_mul_u64 s[0:1], s[14:15], s[12:13]
	v_mul_f32_e32 v3, s2, v3
	s_mul_u64 s[0:1], s[0:1], s[10:11]
	s_mul_u64 s[2:3], s[20:21], s[18:19]
	s_delay_alu instid0(SALU_CYCLE_1) | instskip(NEXT) | instid1(VALU_DEP_1)
	s_mul_u64 s[2:3], s[2:3], s[16:17]
	v_floor_f32_e32 v3, v3
	s_mul_u64 s[2:3], s[2:3], s[8:9]
	s_delay_alu instid0(SALU_CYCLE_1) | instskip(NEXT) | instid1(VALU_DEP_1)
	s_lshl_b64 s[2:3], s[2:3], 1
	v_cvt_i32_f32_e32 v3, v3
	s_delay_alu instid0(VALU_DEP_1) | instskip(SKIP_2) | instid1(VALU_DEP_3)
	v_add_min_i32_e64 v4, s14, -1, v3
	v_floor_f32_e32 v3, v6
	v_floor_f32_e32 v6, v5
	v_ashrrev_i32_e32 v5, 31, v4
	s_delay_alu instid0(VALU_DEP_3) | instskip(NEXT) | instid1(VALU_DEP_3)
	v_cvt_i32_f32_e32 v3, v3
	v_cvt_i32_f32_e32 v7, v6
	s_delay_alu instid0(VALU_DEP_3) | instskip(NEXT) | instid1(VALU_DEP_3)
	v_mad_nc_u64_u32 v[4:5], v2, s0, v[4:5]
	v_add_min_i32_e64 v6, s12, -1, v3
	s_delay_alu instid0(VALU_DEP_3) | instskip(NEXT) | instid1(VALU_DEP_2)
	v_add_min_i32_e64 v3, s10, -1, v7
	v_ashrrev_i32_e32 v7, 31, v6
	s_delay_alu instid0(VALU_DEP_1) | instskip(SKIP_1) | instid1(VALU_DEP_2)
	v_mad_nc_u64_u32 v[6:7], s12, v3, v[6:7]
	v_mad_u32 v5, v8, s0, v5
	v_mad_u32 v7, s13, v3, v7
	s_delay_alu instid0(VALU_DEP_2) | instskip(SKIP_3) | instid1(VALU_DEP_1)
	v_mad_u32 v5, v2, s1, v5
	v_ashrrev_i32_e32 v2, 31, v3
	s_mul_u64 s[0:1], s[0:1], s[8:9]
	s_mov_b64 s[8:9], 0
	v_mad_u32 v7, s12, v2, v7
	s_delay_alu instid0(VALU_DEP_3) | instskip(NEXT) | instid1(VALU_DEP_1)
	v_mad_nc_u64_u32 v[2:3], v6, s14, v[4:5]
	v_mad_u32 v3, v7, s14, v3
	s_delay_alu instid0(VALU_DEP_1)
	v_mad_u32 v3, v6, s15, v3
.LBB8_30:                               ; =>This Inner Loop Header: Depth=1
	s_delay_alu instid0(VALU_DEP_1)
	v_lshl_add_u64 v[4:5], v[2:3], 1, s[4:5]
	s_add_nc_u64 s[8:9], s[8:9], 1
	v_add_nc_u64_e32 v[2:3], s[0:1], v[2:3]
	v_cmp_gt_u64_e64 s10, s[6:7], s[8:9]
	global_load_u16 v4, v[4:5], off
	s_and_b32 vcc_lo, exec_lo, s10
	s_wait_loadcnt 0x0
	global_store_b16 v[0:1], v4, off
	s_wait_xcnt 0x0
	v_add_nc_u64_e32 v[0:1], s[2:3], v[0:1]
	s_cbranch_vccnz .LBB8_30
.LBB8_31:
	s_endpgm
	.section	.rodata,"a",@progbits
	.p2align	6, 0x0
	.amdhsa_kernel _ZN2at6native12_GLOBAL__N_128upsample_nearest3d_out_frameIN3c108BFloat16EXadL_ZNS0_43nearest_neighbor_exact_compute_source_indexEfiiEEEEvPKT_mmmmmmmmPS5_fff
		.amdhsa_group_segment_fixed_size 0
		.amdhsa_private_segment_fixed_size 0
		.amdhsa_kernarg_size 352
		.amdhsa_user_sgpr_count 2
		.amdhsa_user_sgpr_dispatch_ptr 0
		.amdhsa_user_sgpr_queue_ptr 0
		.amdhsa_user_sgpr_kernarg_segment_ptr 1
		.amdhsa_user_sgpr_dispatch_id 0
		.amdhsa_user_sgpr_kernarg_preload_length 0
		.amdhsa_user_sgpr_kernarg_preload_offset 0
		.amdhsa_user_sgpr_private_segment_size 0
		.amdhsa_wavefront_size32 1
		.amdhsa_uses_dynamic_stack 0
		.amdhsa_enable_private_segment 0
		.amdhsa_system_sgpr_workgroup_id_x 1
		.amdhsa_system_sgpr_workgroup_id_y 0
		.amdhsa_system_sgpr_workgroup_id_z 0
		.amdhsa_system_sgpr_workgroup_info 0
		.amdhsa_system_vgpr_workitem_id 0
		.amdhsa_next_free_vgpr 18
		.amdhsa_next_free_sgpr 43
		.amdhsa_named_barrier_count 0
		.amdhsa_reserve_vcc 1
		.amdhsa_float_round_mode_32 0
		.amdhsa_float_round_mode_16_64 0
		.amdhsa_float_denorm_mode_32 3
		.amdhsa_float_denorm_mode_16_64 3
		.amdhsa_fp16_overflow 0
		.amdhsa_memory_ordered 1
		.amdhsa_forward_progress 1
		.amdhsa_inst_pref_size 43
		.amdhsa_round_robin_scheduling 0
		.amdhsa_exception_fp_ieee_invalid_op 0
		.amdhsa_exception_fp_denorm_src 0
		.amdhsa_exception_fp_ieee_div_zero 0
		.amdhsa_exception_fp_ieee_overflow 0
		.amdhsa_exception_fp_ieee_underflow 0
		.amdhsa_exception_fp_ieee_inexact 0
		.amdhsa_exception_int_div_zero 0
	.end_amdhsa_kernel
	.section	.text._ZN2at6native12_GLOBAL__N_128upsample_nearest3d_out_frameIN3c108BFloat16EXadL_ZNS0_43nearest_neighbor_exact_compute_source_indexEfiiEEEEvPKT_mmmmmmmmPS5_fff,"axG",@progbits,_ZN2at6native12_GLOBAL__N_128upsample_nearest3d_out_frameIN3c108BFloat16EXadL_ZNS0_43nearest_neighbor_exact_compute_source_indexEfiiEEEEvPKT_mmmmmmmmPS5_fff,comdat
.Lfunc_end8:
	.size	_ZN2at6native12_GLOBAL__N_128upsample_nearest3d_out_frameIN3c108BFloat16EXadL_ZNS0_43nearest_neighbor_exact_compute_source_indexEfiiEEEEvPKT_mmmmmmmmPS5_fff, .Lfunc_end8-_ZN2at6native12_GLOBAL__N_128upsample_nearest3d_out_frameIN3c108BFloat16EXadL_ZNS0_43nearest_neighbor_exact_compute_source_indexEfiiEEEEvPKT_mmmmmmmmPS5_fff
                                        ; -- End function
	.set _ZN2at6native12_GLOBAL__N_128upsample_nearest3d_out_frameIN3c108BFloat16EXadL_ZNS0_43nearest_neighbor_exact_compute_source_indexEfiiEEEEvPKT_mmmmmmmmPS5_fff.num_vgpr, 18
	.set _ZN2at6native12_GLOBAL__N_128upsample_nearest3d_out_frameIN3c108BFloat16EXadL_ZNS0_43nearest_neighbor_exact_compute_source_indexEfiiEEEEvPKT_mmmmmmmmPS5_fff.num_agpr, 0
	.set _ZN2at6native12_GLOBAL__N_128upsample_nearest3d_out_frameIN3c108BFloat16EXadL_ZNS0_43nearest_neighbor_exact_compute_source_indexEfiiEEEEvPKT_mmmmmmmmPS5_fff.numbered_sgpr, 43
	.set _ZN2at6native12_GLOBAL__N_128upsample_nearest3d_out_frameIN3c108BFloat16EXadL_ZNS0_43nearest_neighbor_exact_compute_source_indexEfiiEEEEvPKT_mmmmmmmmPS5_fff.num_named_barrier, 0
	.set _ZN2at6native12_GLOBAL__N_128upsample_nearest3d_out_frameIN3c108BFloat16EXadL_ZNS0_43nearest_neighbor_exact_compute_source_indexEfiiEEEEvPKT_mmmmmmmmPS5_fff.private_seg_size, 0
	.set _ZN2at6native12_GLOBAL__N_128upsample_nearest3d_out_frameIN3c108BFloat16EXadL_ZNS0_43nearest_neighbor_exact_compute_source_indexEfiiEEEEvPKT_mmmmmmmmPS5_fff.uses_vcc, 1
	.set _ZN2at6native12_GLOBAL__N_128upsample_nearest3d_out_frameIN3c108BFloat16EXadL_ZNS0_43nearest_neighbor_exact_compute_source_indexEfiiEEEEvPKT_mmmmmmmmPS5_fff.uses_flat_scratch, 0
	.set _ZN2at6native12_GLOBAL__N_128upsample_nearest3d_out_frameIN3c108BFloat16EXadL_ZNS0_43nearest_neighbor_exact_compute_source_indexEfiiEEEEvPKT_mmmmmmmmPS5_fff.has_dyn_sized_stack, 0
	.set _ZN2at6native12_GLOBAL__N_128upsample_nearest3d_out_frameIN3c108BFloat16EXadL_ZNS0_43nearest_neighbor_exact_compute_source_indexEfiiEEEEvPKT_mmmmmmmmPS5_fff.has_recursion, 0
	.set _ZN2at6native12_GLOBAL__N_128upsample_nearest3d_out_frameIN3c108BFloat16EXadL_ZNS0_43nearest_neighbor_exact_compute_source_indexEfiiEEEEvPKT_mmmmmmmmPS5_fff.has_indirect_call, 0
	.section	.AMDGPU.csdata,"",@progbits
; Kernel info:
; codeLenInByte = 5416
; TotalNumSgprs: 45
; NumVgprs: 18
; ScratchSize: 0
; MemoryBound: 0
; FloatMode: 240
; IeeeMode: 1
; LDSByteSize: 0 bytes/workgroup (compile time only)
; SGPRBlocks: 0
; VGPRBlocks: 1
; NumSGPRsForWavesPerEU: 45
; NumVGPRsForWavesPerEU: 18
; NamedBarCnt: 0
; Occupancy: 16
; WaveLimiterHint : 0
; COMPUTE_PGM_RSRC2:SCRATCH_EN: 0
; COMPUTE_PGM_RSRC2:USER_SGPR: 2
; COMPUTE_PGM_RSRC2:TRAP_HANDLER: 0
; COMPUTE_PGM_RSRC2:TGID_X_EN: 1
; COMPUTE_PGM_RSRC2:TGID_Y_EN: 0
; COMPUTE_PGM_RSRC2:TGID_Z_EN: 0
; COMPUTE_PGM_RSRC2:TIDIG_COMP_CNT: 0
	.section	.text._ZN2at6native12_GLOBAL__N_128upsample_nearest3d_out_frameIhXadL_ZNS0_43nearest_neighbor_exact_compute_source_indexEfiiEEEEvPKT_mmmmmmmmPS3_fff,"axG",@progbits,_ZN2at6native12_GLOBAL__N_128upsample_nearest3d_out_frameIhXadL_ZNS0_43nearest_neighbor_exact_compute_source_indexEfiiEEEEvPKT_mmmmmmmmPS3_fff,comdat
	.globl	_ZN2at6native12_GLOBAL__N_128upsample_nearest3d_out_frameIhXadL_ZNS0_43nearest_neighbor_exact_compute_source_indexEfiiEEEEvPKT_mmmmmmmmPS3_fff ; -- Begin function _ZN2at6native12_GLOBAL__N_128upsample_nearest3d_out_frameIhXadL_ZNS0_43nearest_neighbor_exact_compute_source_indexEfiiEEEEvPKT_mmmmmmmmPS3_fff
	.p2align	8
	.type	_ZN2at6native12_GLOBAL__N_128upsample_nearest3d_out_frameIhXadL_ZNS0_43nearest_neighbor_exact_compute_source_indexEfiiEEEEvPKT_mmmmmmmmPS3_fff,@function
_ZN2at6native12_GLOBAL__N_128upsample_nearest3d_out_frameIhXadL_ZNS0_43nearest_neighbor_exact_compute_source_indexEfiiEEEEvPKT_mmmmmmmmPS3_fff: ; @_ZN2at6native12_GLOBAL__N_128upsample_nearest3d_out_frameIhXadL_ZNS0_43nearest_neighbor_exact_compute_source_indexEfiiEEEEvPKT_mmmmmmmmPS3_fff
; %bb.0:
	s_clause 0x2
	s_load_b32 s2, s[0:1], 0x6c
	s_load_b512 s[4:19], s[0:1], 0x0
	s_load_b128 s[20:23], s[0:1], 0x40
	s_bfe_u32 s3, ttmp6, 0x4000c
	v_mov_b32_e32 v2, 0
	s_add_co_i32 s3, s3, 1
	s_and_b32 s24, ttmp6, 15
	s_mul_i32 s3, ttmp9, s3
	s_getreg_b32 s25, hwreg(HW_REG_IB_STS2, 6, 4)
	v_mov_b32_e32 v1, v2
	s_add_co_i32 s24, s24, s3
	s_wait_kmcnt 0x0
	s_and_b32 s2, s2, 0xffff
	s_cmp_eq_u32 s25, 0
	s_cselect_b32 s3, ttmp9, s24
	s_cmp_lg_u64 s[6:7], 0
	v_mad_nc_u64_u32 v[0:1], s2, s3, v[0:1]
	s_mul_u64 s[2:3], s[18:19], s[16:17]
	s_cselect_b32 s26, -1, 0
	s_mul_u64 s[24:25], s[2:3], s[8:9]
	s_delay_alu instid0(SALU_CYCLE_1)
	s_mul_u64 s[24:25], s[24:25], s[20:21]
	s_delay_alu instid0(VALU_DEP_1) | instid1(SALU_CYCLE_1)
	v_cmp_gt_u64_e32 vcc_lo, s[24:25], v[0:1]
	s_and_b32 s26, vcc_lo, s26
	s_delay_alu instid0(SALU_CYCLE_1)
	s_and_saveexec_b32 s27, s26
	s_cbranch_execz .LBB9_31
; %bb.1:
	s_mul_u64 s[26:27], s[2:3], s[20:21]
                                        ; implicit-def: $vgpr4_vgpr5
	s_mov_b32 s2, exec_lo
	v_or_b32_e32 v3, s27, v1
	s_delay_alu instid0(VALU_DEP_1)
	v_cmpx_ne_u64_e32 0, v[2:3]
	s_xor_b32 s3, exec_lo, s2
	s_cbranch_execz .LBB9_3
; %bb.2:
	s_ashr_i32 s28, s27, 31
	s_mov_b32 s41, 0
	s_mov_b32 s29, s28
	v_dual_mov_b32 v7, 0 :: v_dual_ashrrev_i32 v2, 31, v1
	s_add_nc_u64 s[30:31], s[26:27], s[28:29]
	s_delay_alu instid0(SALU_CYCLE_1) | instskip(NEXT) | instid1(VALU_DEP_1)
	s_xor_b64 s[30:31], s[30:31], s[28:29]
	v_mov_b32_e32 v3, v2
	s_cvt_f32_u32 s2, s30
	s_cvt_f32_u32 s27, s31
	s_sub_nc_u64 s[36:37], 0, s[30:31]
	s_delay_alu instid0(VALU_DEP_1) | instskip(NEXT) | instid1(SALU_CYCLE_1)
	v_add_nc_u64_e32 v[4:5], v[0:1], v[2:3]
	s_fmamk_f32 s2, s27, 0x4f800000, s2
	v_mov_b32_e32 v9, v7
	s_delay_alu instid0(SALU_CYCLE_2) | instskip(NEXT) | instid1(VALU_DEP_2)
	v_s_rcp_f32 s2, s2
	v_xor_b32_e32 v6, v4, v2
	s_delay_alu instid0(VALU_DEP_3) | instskip(SKIP_1) | instid1(TRANS32_DEP_1)
	v_dual_mov_b32 v15, v7 :: v_dual_bitop2_b32 v8, v5, v2 bitop3:0x14
	v_xor_b32_e32 v2, s28, v2
	s_mul_f32 s2, s2, 0x5f7ffffc
	s_delay_alu instid0(SALU_CYCLE_3) | instskip(NEXT) | instid1(SALU_CYCLE_3)
	s_mul_f32 s27, s2, 0x2f800000
	s_trunc_f32 s27, s27
	s_delay_alu instid0(SALU_CYCLE_3) | instskip(SKIP_1) | instid1(SALU_CYCLE_2)
	s_fmamk_f32 s2, s27, 0xcf800000, s2
	s_cvt_u32_f32 s35, s27
	s_cvt_u32_f32 s34, s2
	s_delay_alu instid0(SALU_CYCLE_3) | instskip(NEXT) | instid1(SALU_CYCLE_1)
	s_mul_u64 s[38:39], s[36:37], s[34:35]
	s_mul_hi_u32 s43, s34, s39
	s_mul_i32 s42, s34, s39
	s_mul_hi_u32 s40, s34, s38
	s_mul_i32 s27, s35, s38
	s_add_nc_u64 s[42:43], s[40:41], s[42:43]
	s_mul_hi_u32 s2, s35, s38
	s_mul_hi_u32 s29, s35, s39
	s_add_co_u32 s27, s42, s27
	s_add_co_ci_u32 s40, s43, s2
	s_mul_i32 s38, s35, s39
	s_add_co_ci_u32 s39, s29, 0
	s_delay_alu instid0(SALU_CYCLE_1) | instskip(NEXT) | instid1(SALU_CYCLE_1)
	s_add_nc_u64 s[38:39], s[40:41], s[38:39]
	s_add_co_u32 s34, s34, s38
	s_cselect_b32 s2, -1, 0
	s_delay_alu instid0(SALU_CYCLE_1) | instskip(SKIP_1) | instid1(SALU_CYCLE_1)
	s_cmp_lg_u32 s2, 0
	s_add_co_ci_u32 s35, s35, s39
	s_mul_u64 s[36:37], s[36:37], s[34:35]
	s_delay_alu instid0(SALU_CYCLE_1)
	s_mul_hi_u32 s39, s34, s37
	s_mul_i32 s38, s34, s37
	s_mul_hi_u32 s40, s34, s36
	s_mul_i32 s27, s35, s36
	s_add_nc_u64 s[38:39], s[40:41], s[38:39]
	s_mul_hi_u32 s2, s35, s36
	s_mul_hi_u32 s29, s35, s37
	s_add_co_u32 s27, s38, s27
	s_add_co_ci_u32 s40, s39, s2
	s_mul_i32 s36, s35, s37
	s_add_co_ci_u32 s37, s29, 0
	s_delay_alu instid0(SALU_CYCLE_1) | instskip(NEXT) | instid1(SALU_CYCLE_1)
	s_add_nc_u64 s[36:37], s[40:41], s[36:37]
	s_add_co_u32 s2, s34, s36
	s_cselect_b32 s27, -1, 0
	v_mul_hi_u32 v14, v6, s2
	s_cmp_lg_u32 s27, 0
	s_add_co_ci_u32 s40, s35, s37
	s_mov_b64 s[34:35], 0xffffffff
	v_mul_u64_e32 v[10:11], s[40:41], v[6:7]
	s_and_b64 s[34:35], s[2:3], s[34:35]
	v_mul_u64_e32 v[12:13], s[40:41], v[8:9]
	v_mul_u64_e32 v[4:5], s[34:35], v[8:9]
	s_delay_alu instid0(VALU_DEP_3) | instskip(NEXT) | instid1(VALU_DEP_1)
	v_add_nc_u64_e32 v[10:11], v[14:15], v[10:11]
	v_add_co_u32 v3, vcc_lo, v10, v4
	s_delay_alu instid0(VALU_DEP_2) | instskip(SKIP_1) | instid1(VALU_DEP_1)
	v_add_co_ci_u32_e32 v14, vcc_lo, v11, v5, vcc_lo
	v_add_co_ci_u32_e32 v13, vcc_lo, 0, v13, vcc_lo
	v_add_nc_u64_e32 v[4:5], v[14:15], v[12:13]
	s_delay_alu instid0(VALU_DEP_1) | instskip(NEXT) | instid1(VALU_DEP_1)
	v_mul_u64_e32 v[10:11], s[30:31], v[4:5]
	v_sub_nc_u32_e32 v3, v8, v11
	s_delay_alu instid0(VALU_DEP_2) | instskip(NEXT) | instid1(VALU_DEP_1)
	v_sub_co_u32 v6, vcc_lo, v6, v10
	v_sub_co_ci_u32_e64 v10, null, v8, v11, vcc_lo
	s_delay_alu instid0(VALU_DEP_3) | instskip(NEXT) | instid1(VALU_DEP_3)
	v_subrev_co_ci_u32_e64 v3, null, s31, v3, vcc_lo
	v_sub_co_u32 v7, s2, v6, s30
	s_delay_alu instid0(VALU_DEP_1) | instskip(NEXT) | instid1(VALU_DEP_2)
	v_subrev_co_ci_u32_e64 v3, null, 0, v3, s2
	v_cmp_le_u32_e32 vcc_lo, s30, v7
	v_cndmask_b32_e64 v7, 0, -1, vcc_lo
	s_delay_alu instid0(VALU_DEP_3)
	v_cmp_le_u32_e32 vcc_lo, s31, v3
	v_cndmask_b32_e64 v8, 0, -1, vcc_lo
	v_cmp_le_u32_e32 vcc_lo, s30, v6
	v_cndmask_b32_e64 v11, 0, -1, vcc_lo
	v_cmp_le_u32_e32 vcc_lo, s31, v10
	v_cndmask_b32_e64 v12, 0, -1, vcc_lo
	v_cmp_eq_u32_e32 vcc_lo, s31, v3
	v_cndmask_b32_e32 v3, v8, v7, vcc_lo
	v_cmp_eq_u32_e32 vcc_lo, s31, v10
	v_add_nc_u64_e32 v[6:7], 2, v[4:5]
	v_add_nc_u64_e32 v[8:9], 1, v[4:5]
	v_cndmask_b32_e32 v10, v12, v11, vcc_lo
	v_cmp_ne_u32_e32 vcc_lo, 0, v3
	s_delay_alu instid0(VALU_DEP_2) | instskip(NEXT) | instid1(VALU_DEP_4)
	v_cmp_ne_u32_e64 s2, 0, v10
	v_dual_cndmask_b32 v6, v8, v6 :: v_dual_cndmask_b32 v3, v9, v7
	s_delay_alu instid0(VALU_DEP_1) | instskip(NEXT) | instid1(VALU_DEP_1)
	v_dual_cndmask_b32 v4, v4, v6, s2 :: v_dual_cndmask_b32 v5, v5, v3, s2
	v_dual_mov_b32 v3, v2 :: v_dual_bitop2_b32 v4, v4, v2 bitop3:0x14
	s_delay_alu instid0(VALU_DEP_2) | instskip(NEXT) | instid1(VALU_DEP_1)
	v_xor_b32_e32 v5, v5, v2
	v_sub_nc_u64_e32 v[4:5], v[4:5], v[2:3]
.LBB9_3:
	s_and_not1_saveexec_b32 s2, s3
	s_cbranch_execz .LBB9_5
; %bb.4:
	v_cvt_f32_u32_e32 v2, s26
	s_sub_co_i32 s3, 0, s26
	s_delay_alu instid0(VALU_DEP_1) | instskip(SKIP_1) | instid1(TRANS32_DEP_1)
	v_rcp_iflag_f32_e32 v2, v2
	v_nop
	v_mul_f32_e32 v2, 0x4f7ffffe, v2
	s_delay_alu instid0(VALU_DEP_1) | instskip(NEXT) | instid1(VALU_DEP_1)
	v_cvt_u32_f32_e32 v2, v2
	v_mul_lo_u32 v3, s3, v2
	s_delay_alu instid0(VALU_DEP_1) | instskip(NEXT) | instid1(VALU_DEP_1)
	v_mul_hi_u32 v3, v2, v3
	v_add_nc_u32_e32 v2, v2, v3
	s_delay_alu instid0(VALU_DEP_1) | instskip(NEXT) | instid1(VALU_DEP_1)
	v_mul_hi_u32 v2, v0, v2
	v_mul_lo_u32 v3, v2, s26
	s_delay_alu instid0(VALU_DEP_1) | instskip(NEXT) | instid1(VALU_DEP_1)
	v_dual_add_nc_u32 v4, 1, v2 :: v_dual_sub_nc_u32 v3, v0, v3
	v_subrev_nc_u32_e32 v5, s26, v3
	v_cmp_le_u32_e32 vcc_lo, s26, v3
	s_delay_alu instid0(VALU_DEP_2) | instskip(NEXT) | instid1(VALU_DEP_4)
	v_dual_cndmask_b32 v3, v3, v5, vcc_lo :: v_dual_mov_b32 v5, 0
	v_cndmask_b32_e32 v2, v2, v4, vcc_lo
	s_delay_alu instid0(VALU_DEP_2) | instskip(NEXT) | instid1(VALU_DEP_2)
	v_cmp_le_u32_e32 vcc_lo, s26, v3
	v_add_nc_u32_e32 v4, 1, v2
	s_delay_alu instid0(VALU_DEP_1)
	v_cndmask_b32_e32 v4, v2, v4, vcc_lo
.LBB9_5:
	s_or_b32 exec_lo, exec_lo, s2
	s_delay_alu instid0(VALU_DEP_1) | instskip(SKIP_1) | instid1(VALU_DEP_1)
	v_dual_mov_b32 v6, 0 :: v_dual_bitop2_b32 v7, s9, v5 bitop3:0x54
                                        ; implicit-def: $vgpr2_vgpr3
	s_mov_b32 s2, exec_lo
	v_cmpx_ne_u64_e32 0, v[6:7]
	s_xor_b32 s3, exec_lo, s2
	s_cbranch_execz .LBB9_7
; %bb.6:
	s_cvt_f32_u32 s2, s8
	s_cvt_f32_u32 s26, s9
	s_sub_nc_u64 s[28:29], 0, s[8:9]
	s_mov_b32 s35, 0
	v_dual_mov_b32 v2, v4 :: v_dual_mov_b32 v3, v6
	s_fmamk_f32 s2, s26, 0x4f800000, s2
	v_dual_mov_b32 v8, v5 :: v_dual_mov_b32 v9, v6
	v_dual_mov_b32 v13, v6 :: v_dual_mov_b32 v7, v6
	s_delay_alu instid0(SALU_CYCLE_1) | instskip(NEXT) | instid1(TRANS32_DEP_1)
	v_s_rcp_f32 s2, s2
	s_mul_f32 s2, s2, 0x5f7ffffc
	s_delay_alu instid0(SALU_CYCLE_3) | instskip(NEXT) | instid1(SALU_CYCLE_3)
	s_mul_f32 s26, s2, 0x2f800000
	s_trunc_f32 s26, s26
	s_delay_alu instid0(SALU_CYCLE_3) | instskip(SKIP_1) | instid1(SALU_CYCLE_2)
	s_fmamk_f32 s2, s26, 0xcf800000, s2
	s_cvt_u32_f32 s27, s26
	s_cvt_u32_f32 s26, s2
	s_delay_alu instid0(SALU_CYCLE_3) | instskip(NEXT) | instid1(SALU_CYCLE_1)
	s_mul_u64 s[30:31], s[28:29], s[26:27]
	s_mul_hi_u32 s37, s26, s31
	s_mul_i32 s36, s26, s31
	s_mul_hi_u32 s34, s26, s30
	s_mul_i32 s33, s27, s30
	s_add_nc_u64 s[36:37], s[34:35], s[36:37]
	s_mul_hi_u32 s2, s27, s30
	s_mul_hi_u32 s38, s27, s31
	s_mul_i32 s30, s27, s31
	s_add_co_u32 s31, s36, s33
	s_add_co_ci_u32 s34, s37, s2
	s_add_co_ci_u32 s31, s38, 0
	s_delay_alu instid0(SALU_CYCLE_1) | instskip(NEXT) | instid1(SALU_CYCLE_1)
	s_add_nc_u64 s[30:31], s[34:35], s[30:31]
	s_add_co_u32 s26, s26, s30
	s_cselect_b32 s2, -1, 0
	s_delay_alu instid0(SALU_CYCLE_1) | instskip(SKIP_1) | instid1(SALU_CYCLE_1)
	s_cmp_lg_u32 s2, 0
	s_add_co_ci_u32 s27, s27, s31
	s_mul_u64 s[28:29], s[28:29], s[26:27]
	s_delay_alu instid0(SALU_CYCLE_1)
	s_mul_hi_u32 s31, s26, s29
	s_mul_i32 s30, s26, s29
	s_mul_hi_u32 s34, s26, s28
	s_mul_i32 s33, s27, s28
	s_add_nc_u64 s[30:31], s[34:35], s[30:31]
	s_mul_hi_u32 s2, s27, s28
	s_mul_hi_u32 s36, s27, s29
	s_mul_i32 s28, s27, s29
	s_add_co_u32 s29, s30, s33
	s_add_co_ci_u32 s34, s31, s2
	s_add_co_ci_u32 s29, s36, 0
	s_delay_alu instid0(SALU_CYCLE_1) | instskip(NEXT) | instid1(SALU_CYCLE_1)
	s_add_nc_u64 s[28:29], s[34:35], s[28:29]
	s_add_co_u32 s2, s26, s28
	s_cselect_b32 s26, -1, 0
	v_nop
	v_mul_hi_u32 v12, v4, s2
	s_cmp_lg_u32 s26, 0
	s_add_co_ci_u32 s34, s27, s29
	s_mov_b64 s[26:27], 0xffffffff
	v_mul_u64_e32 v[2:3], s[34:35], v[2:3]
	s_and_b64 s[26:27], s[2:3], s[26:27]
	s_delay_alu instid0(SALU_CYCLE_1) | instskip(SKIP_1) | instid1(VALU_DEP_3)
	v_mul_u64_e32 v[10:11], s[26:27], v[8:9]
	v_mul_u64_e32 v[8:9], s[34:35], v[8:9]
	v_add_nc_u64_e32 v[2:3], v[12:13], v[2:3]
	s_delay_alu instid0(VALU_DEP_1) | instskip(NEXT) | instid1(VALU_DEP_2)
	v_add_co_u32 v2, vcc_lo, v2, v10
	v_add_co_ci_u32_e32 v6, vcc_lo, v3, v11, vcc_lo
	s_delay_alu instid0(VALU_DEP_4) | instskip(NEXT) | instid1(VALU_DEP_1)
	v_add_co_ci_u32_e32 v9, vcc_lo, 0, v9, vcc_lo
	v_add_nc_u64_e32 v[2:3], v[6:7], v[8:9]
	s_delay_alu instid0(VALU_DEP_1) | instskip(NEXT) | instid1(VALU_DEP_1)
	v_mul_u64_e32 v[2:3], s[8:9], v[2:3]
	v_sub_nc_u32_e32 v6, v5, v3
	s_delay_alu instid0(VALU_DEP_2) | instskip(NEXT) | instid1(VALU_DEP_1)
	v_sub_co_u32 v2, vcc_lo, v4, v2
	v_sub_co_ci_u32_e64 v3, null, v5, v3, vcc_lo
	s_delay_alu instid0(VALU_DEP_3) | instskip(NEXT) | instid1(VALU_DEP_3)
	v_subrev_co_ci_u32_e64 v4, null, s9, v6, vcc_lo
	v_sub_co_u32 v5, vcc_lo, v2, s8
	v_cmp_le_u32_e64 s2, s8, v2
	s_delay_alu instid0(VALU_DEP_3) | instskip(SKIP_1) | instid1(VALU_DEP_3)
	v_subrev_co_ci_u32_e64 v6, null, 0, v4, vcc_lo
	v_subrev_co_ci_u32_e64 v4, null, s9, v4, vcc_lo
	v_cndmask_b32_e64 v7, 0, -1, s2
	v_cmp_le_u32_e64 s2, s8, v5
	v_cmp_le_u32_e32 vcc_lo, s9, v3
	s_delay_alu instid0(VALU_DEP_2) | instskip(SKIP_3) | instid1(VALU_DEP_3)
	v_cndmask_b32_e64 v8, 0, -1, s2
	v_cmp_le_u32_e64 s2, s9, v6
	v_cndmask_b32_e64 v10, 0, -1, vcc_lo
	v_cmp_eq_u32_e32 vcc_lo, s9, v6
	v_cndmask_b32_e64 v9, 0, -1, s2
	s_delay_alu instid0(VALU_DEP_1) | instskip(SKIP_1) | instid1(VALU_DEP_1)
	v_cndmask_b32_e32 v6, v9, v8, vcc_lo
	v_sub_co_u32 v8, vcc_lo, v5, s8
	v_subrev_co_ci_u32_e64 v4, null, 0, v4, vcc_lo
	v_cmp_eq_u32_e32 vcc_lo, s9, v3
	v_cndmask_b32_e32 v3, v10, v7, vcc_lo
	v_cmp_ne_u32_e32 vcc_lo, 0, v6
	v_cndmask_b32_e32 v4, v5, v8, vcc_lo
	s_delay_alu instid0(VALU_DEP_3) | instskip(NEXT) | instid1(VALU_DEP_2)
	v_cmp_ne_u32_e32 vcc_lo, 0, v3
	v_cndmask_b32_e32 v2, v2, v4, vcc_lo
                                        ; implicit-def: $vgpr4_vgpr5
.LBB9_7:
	s_and_not1_saveexec_b32 s2, s3
	s_cbranch_execz .LBB9_9
; %bb.8:
	v_cvt_f32_u32_e32 v2, s8
	s_sub_co_i32 s3, 0, s8
	s_delay_alu instid0(VALU_DEP_1) | instskip(SKIP_1) | instid1(TRANS32_DEP_1)
	v_rcp_iflag_f32_e32 v2, v2
	v_nop
	v_mul_f32_e32 v2, 0x4f7ffffe, v2
	s_delay_alu instid0(VALU_DEP_1) | instskip(NEXT) | instid1(VALU_DEP_1)
	v_cvt_u32_f32_e32 v2, v2
	v_mul_lo_u32 v3, s3, v2
	s_delay_alu instid0(VALU_DEP_1) | instskip(NEXT) | instid1(VALU_DEP_1)
	v_mul_hi_u32 v3, v2, v3
	v_add_nc_u32_e32 v2, v2, v3
	s_delay_alu instid0(VALU_DEP_1) | instskip(NEXT) | instid1(VALU_DEP_1)
	v_mul_hi_u32 v2, v4, v2
	v_mul_lo_u32 v2, v2, s8
	s_delay_alu instid0(VALU_DEP_1) | instskip(NEXT) | instid1(VALU_DEP_1)
	v_sub_nc_u32_e32 v2, v4, v2
	v_subrev_nc_u32_e32 v3, s8, v2
	v_cmp_le_u32_e32 vcc_lo, s8, v2
	s_delay_alu instid0(VALU_DEP_2) | instskip(NEXT) | instid1(VALU_DEP_1)
	v_cndmask_b32_e32 v2, v2, v3, vcc_lo
	v_subrev_nc_u32_e32 v3, s8, v2
	v_cmp_le_u32_e32 vcc_lo, s8, v2
	s_delay_alu instid0(VALU_DEP_2)
	v_cndmask_b32_e32 v2, v2, v3, vcc_lo
.LBB9_9:
	s_or_b32 exec_lo, exec_lo, s2
	v_dual_mov_b32 v6, 0 :: v_dual_bitop2_b32 v7, s21, v1 bitop3:0x54
	s_cvt_f32_u32 s31, s20
	s_cvt_f32_u32 s33, s21
	s_sub_nc_u64 s[28:29], 0, s[20:21]
                                        ; implicit-def: $vgpr4_vgpr5
	s_mov_b32 s2, exec_lo
	v_cmpx_ne_u64_e32 0, v[6:7]
	s_xor_b32 s3, exec_lo, s2
	s_cbranch_execz .LBB9_11
; %bb.10:
	s_fmamk_f32 s2, s33, 0x4f800000, s31
	s_mov_b32 s37, 0
	v_dual_mov_b32 v4, v0 :: v_dual_mov_b32 v5, v6
	s_delay_alu instid0(SALU_CYCLE_1) | instskip(SKIP_2) | instid1(TRANS32_DEP_1)
	v_s_rcp_f32 s2, s2
	v_dual_mov_b32 v8, v1 :: v_dual_mov_b32 v9, v6
	v_dual_mov_b32 v13, v6 :: v_dual_mov_b32 v7, v6
	s_mul_f32 s2, s2, 0x5f7ffffc
	s_delay_alu instid0(SALU_CYCLE_3) | instskip(NEXT) | instid1(SALU_CYCLE_3)
	s_mul_f32 s26, s2, 0x2f800000
	s_trunc_f32 s26, s26
	s_delay_alu instid0(SALU_CYCLE_3) | instskip(SKIP_1) | instid1(SALU_CYCLE_2)
	s_fmamk_f32 s2, s26, 0xcf800000, s2
	s_cvt_u32_f32 s27, s26
	s_cvt_u32_f32 s26, s2
	s_delay_alu instid0(SALU_CYCLE_3) | instskip(NEXT) | instid1(SALU_CYCLE_1)
	s_mul_u64 s[34:35], s[28:29], s[26:27]
	s_mul_hi_u32 s39, s26, s35
	s_mul_i32 s38, s26, s35
	s_mul_hi_u32 s36, s26, s34
	s_mul_i32 s30, s27, s34
	s_add_nc_u64 s[38:39], s[36:37], s[38:39]
	s_mul_hi_u32 s2, s27, s34
	s_mul_hi_u32 s40, s27, s35
	s_add_co_u32 s30, s38, s30
	s_add_co_ci_u32 s36, s39, s2
	s_mul_i32 s34, s27, s35
	s_add_co_ci_u32 s35, s40, 0
	s_delay_alu instid0(SALU_CYCLE_1) | instskip(NEXT) | instid1(SALU_CYCLE_1)
	s_add_nc_u64 s[34:35], s[36:37], s[34:35]
	s_add_co_u32 s26, s26, s34
	s_cselect_b32 s2, -1, 0
	s_delay_alu instid0(SALU_CYCLE_1) | instskip(SKIP_1) | instid1(SALU_CYCLE_1)
	s_cmp_lg_u32 s2, 0
	s_add_co_ci_u32 s27, s27, s35
	s_mul_u64 s[34:35], s[28:29], s[26:27]
	s_delay_alu instid0(SALU_CYCLE_1)
	s_mul_hi_u32 s39, s26, s35
	s_mul_i32 s38, s26, s35
	s_mul_hi_u32 s36, s26, s34
	s_mul_i32 s30, s27, s34
	s_add_nc_u64 s[38:39], s[36:37], s[38:39]
	s_mul_hi_u32 s2, s27, s34
	s_mul_hi_u32 s40, s27, s35
	s_add_co_u32 s30, s38, s30
	s_add_co_ci_u32 s36, s39, s2
	s_mul_i32 s34, s27, s35
	s_add_co_ci_u32 s35, s40, 0
	s_delay_alu instid0(SALU_CYCLE_1) | instskip(NEXT) | instid1(SALU_CYCLE_1)
	s_add_nc_u64 s[34:35], s[36:37], s[34:35]
	s_add_co_u32 s2, s26, s34
	s_cselect_b32 s26, -1, 0
	v_mul_hi_u32 v12, v0, s2
	s_cmp_lg_u32 s26, 0
	s_add_co_ci_u32 s36, s27, s35
	s_mov_b64 s[26:27], 0xffffffff
	v_mul_u64_e32 v[4:5], s[36:37], v[4:5]
	s_and_b64 s[26:27], s[2:3], s[26:27]
	s_delay_alu instid0(SALU_CYCLE_1) | instskip(SKIP_1) | instid1(VALU_DEP_3)
	v_mul_u64_e32 v[10:11], s[26:27], v[8:9]
	v_mul_u64_e32 v[8:9], s[36:37], v[8:9]
	v_add_nc_u64_e32 v[4:5], v[12:13], v[4:5]
	s_delay_alu instid0(VALU_DEP_1) | instskip(NEXT) | instid1(VALU_DEP_2)
	v_add_co_u32 v3, vcc_lo, v4, v10
	v_add_co_ci_u32_e32 v6, vcc_lo, v5, v11, vcc_lo
	s_delay_alu instid0(VALU_DEP_4) | instskip(NEXT) | instid1(VALU_DEP_1)
	v_add_co_ci_u32_e32 v9, vcc_lo, 0, v9, vcc_lo
	v_add_nc_u64_e32 v[4:5], v[6:7], v[8:9]
	s_delay_alu instid0(VALU_DEP_1) | instskip(SKIP_1) | instid1(VALU_DEP_2)
	v_mul_u64_e32 v[6:7], s[20:21], v[4:5]
	v_add_nc_u64_e32 v[8:9], 2, v[4:5]
	v_sub_nc_u32_e32 v3, v1, v7
	s_delay_alu instid0(VALU_DEP_3) | instskip(NEXT) | instid1(VALU_DEP_1)
	v_sub_co_u32 v6, vcc_lo, v0, v6
	v_sub_co_ci_u32_e64 v12, null, v1, v7, vcc_lo
	s_delay_alu instid0(VALU_DEP_3) | instskip(NEXT) | instid1(VALU_DEP_3)
	v_subrev_co_ci_u32_e64 v3, null, s21, v3, vcc_lo
	v_sub_co_u32 v10, s2, v6, s20
	v_cmp_le_u32_e32 vcc_lo, s20, v6
	s_delay_alu instid0(VALU_DEP_3) | instskip(NEXT) | instid1(VALU_DEP_3)
	v_subrev_co_ci_u32_e64 v3, null, 0, v3, s2
	v_cmp_le_u32_e64 s2, s20, v10
	v_add_nc_u64_e32 v[6:7], 1, v[4:5]
	v_cndmask_b32_e64 v13, 0, -1, vcc_lo
	s_delay_alu instid0(VALU_DEP_4) | instskip(NEXT) | instid1(VALU_DEP_4)
	v_cmp_eq_u32_e32 vcc_lo, s21, v3
	v_cndmask_b32_e64 v10, 0, -1, s2
	v_cmp_le_u32_e64 s2, s21, v3
	s_delay_alu instid0(VALU_DEP_1) | instskip(SKIP_1) | instid1(VALU_DEP_2)
	v_cndmask_b32_e64 v11, 0, -1, s2
	v_cmp_eq_u32_e64 s2, s21, v12
	v_cndmask_b32_e32 v3, v11, v10, vcc_lo
	v_cmp_le_u32_e32 vcc_lo, s21, v12
	v_cndmask_b32_e64 v10, 0, -1, vcc_lo
	s_delay_alu instid0(VALU_DEP_3) | instskip(SKIP_1) | instid1(VALU_DEP_3)
	v_cmp_ne_u32_e32 vcc_lo, 0, v3
	v_cndmask_b32_e32 v7, v7, v9, vcc_lo
	v_cndmask_b32_e64 v3, v10, v13, s2
	v_cndmask_b32_e32 v6, v6, v8, vcc_lo
	s_delay_alu instid0(VALU_DEP_2) | instskip(NEXT) | instid1(VALU_DEP_2)
	v_cmp_ne_u32_e32 vcc_lo, 0, v3
	v_dual_cndmask_b32 v5, v5, v7 :: v_dual_cndmask_b32 v4, v4, v6
.LBB9_11:
	s_or_saveexec_b32 s2, s3
	v_cvt_f32_u32_e32 v12, s20
	s_xor_b32 exec_lo, exec_lo, s2
	s_cbranch_execz .LBB9_13
; %bb.12:
	s_delay_alu instid0(VALU_DEP_1) | instskip(SKIP_2) | instid1(TRANS32_DEP_1)
	v_rcp_iflag_f32_e32 v3, v12
	s_sub_co_i32 s3, 0, s20
	v_nop
	v_mul_f32_e32 v3, 0x4f7ffffe, v3
	s_delay_alu instid0(VALU_DEP_1) | instskip(NEXT) | instid1(VALU_DEP_1)
	v_cvt_u32_f32_e32 v3, v3
	v_mul_lo_u32 v4, s3, v3
	s_delay_alu instid0(VALU_DEP_1) | instskip(NEXT) | instid1(VALU_DEP_1)
	v_mul_hi_u32 v4, v3, v4
	v_add_nc_u32_e32 v3, v3, v4
	s_delay_alu instid0(VALU_DEP_1) | instskip(NEXT) | instid1(VALU_DEP_1)
	v_mul_hi_u32 v3, v0, v3
	v_mul_lo_u32 v4, v3, s20
	s_delay_alu instid0(VALU_DEP_1) | instskip(NEXT) | instid1(VALU_DEP_1)
	v_dual_add_nc_u32 v5, 1, v3 :: v_dual_sub_nc_u32 v4, v0, v4
	v_subrev_nc_u32_e32 v6, s20, v4
	v_cmp_le_u32_e32 vcc_lo, s20, v4
	s_delay_alu instid0(VALU_DEP_2) | instskip(NEXT) | instid1(VALU_DEP_1)
	v_dual_cndmask_b32 v4, v4, v6 :: v_dual_cndmask_b32 v3, v3, v5
	v_cmp_le_u32_e32 vcc_lo, s20, v4
	s_delay_alu instid0(VALU_DEP_2) | instskip(NEXT) | instid1(VALU_DEP_1)
	v_add_nc_u32_e32 v5, 1, v3
	v_dual_cndmask_b32 v4, v3, v5 :: v_dual_mov_b32 v5, 0
.LBB9_13:
	s_or_b32 exec_lo, exec_lo, s2
	v_dual_mov_b32 v8, 0 :: v_dual_bitop2_b32 v9, s19, v1 bitop3:0x54
	s_cvt_f32_u32 s3, s18
	s_cvt_f32_u32 s30, s19
	s_sub_nc_u64 s[26:27], 0, s[18:19]
                                        ; implicit-def: $vgpr6_vgpr7
	s_mov_b32 s2, exec_lo
	v_cmpx_ne_u64_e32 0, v[8:9]
	s_xor_b32 s34, exec_lo, s2
	s_cbranch_execz .LBB9_15
; %bb.14:
	s_fmamk_f32 s2, s30, 0x4f800000, s3
	s_mov_b32 s41, 0
	v_dual_mov_b32 v6, v0 :: v_dual_mov_b32 v7, v8
	s_delay_alu instid0(SALU_CYCLE_1) | instskip(SKIP_2) | instid1(TRANS32_DEP_1)
	v_s_rcp_f32 s2, s2
	v_dual_mov_b32 v10, v1 :: v_dual_mov_b32 v11, v8
	v_dual_mov_b32 v17, v8 :: v_dual_mov_b32 v9, v8
	s_mul_f32 s2, s2, 0x5f7ffffc
	s_delay_alu instid0(SALU_CYCLE_3) | instskip(NEXT) | instid1(SALU_CYCLE_3)
	s_mul_f32 s35, s2, 0x2f800000
	s_trunc_f32 s35, s35
	s_delay_alu instid0(SALU_CYCLE_3) | instskip(SKIP_1) | instid1(SALU_CYCLE_2)
	s_fmamk_f32 s2, s35, 0xcf800000, s2
	s_cvt_u32_f32 s37, s35
	s_cvt_u32_f32 s36, s2
	s_delay_alu instid0(SALU_CYCLE_3) | instskip(NEXT) | instid1(SALU_CYCLE_1)
	s_mul_u64 s[38:39], s[26:27], s[36:37]
	s_mul_hi_u32 s43, s36, s39
	s_mul_i32 s42, s36, s39
	s_mul_hi_u32 s40, s36, s38
	s_mul_i32 s35, s37, s38
	s_add_nc_u64 s[42:43], s[40:41], s[42:43]
	s_mul_hi_u32 s2, s37, s38
	s_mul_hi_u32 s44, s37, s39
	s_add_co_u32 s35, s42, s35
	s_add_co_ci_u32 s40, s43, s2
	s_mul_i32 s38, s37, s39
	s_add_co_ci_u32 s39, s44, 0
	s_delay_alu instid0(SALU_CYCLE_1) | instskip(NEXT) | instid1(SALU_CYCLE_1)
	s_add_nc_u64 s[38:39], s[40:41], s[38:39]
	s_add_co_u32 s36, s36, s38
	s_cselect_b32 s2, -1, 0
	s_delay_alu instid0(SALU_CYCLE_1) | instskip(SKIP_1) | instid1(SALU_CYCLE_1)
	s_cmp_lg_u32 s2, 0
	s_add_co_ci_u32 s37, s37, s39
	s_mul_u64 s[38:39], s[26:27], s[36:37]
	s_delay_alu instid0(SALU_CYCLE_1)
	s_mul_hi_u32 s43, s36, s39
	s_mul_i32 s42, s36, s39
	s_mul_hi_u32 s40, s36, s38
	s_mul_i32 s35, s37, s38
	s_add_nc_u64 s[42:43], s[40:41], s[42:43]
	s_mul_hi_u32 s2, s37, s38
	s_mul_hi_u32 s44, s37, s39
	s_add_co_u32 s35, s42, s35
	s_add_co_ci_u32 s40, s43, s2
	s_mul_i32 s38, s37, s39
	s_add_co_ci_u32 s39, s44, 0
	s_delay_alu instid0(SALU_CYCLE_1) | instskip(NEXT) | instid1(SALU_CYCLE_1)
	s_add_nc_u64 s[38:39], s[40:41], s[38:39]
	s_add_co_u32 s2, s36, s38
	s_cselect_b32 s35, -1, 0
	v_mul_hi_u32 v16, v0, s2
	s_cmp_lg_u32 s35, 0
	s_add_co_ci_u32 s40, s37, s39
	s_mov_b64 s[36:37], 0xffffffff
	v_mul_u64_e32 v[6:7], s[40:41], v[6:7]
	s_and_b64 s[36:37], s[2:3], s[36:37]
	s_delay_alu instid0(SALU_CYCLE_1) | instskip(SKIP_1) | instid1(VALU_DEP_3)
	v_mul_u64_e32 v[14:15], s[36:37], v[10:11]
	v_mul_u64_e32 v[10:11], s[40:41], v[10:11]
	v_add_nc_u64_e32 v[6:7], v[16:17], v[6:7]
	s_delay_alu instid0(VALU_DEP_1) | instskip(NEXT) | instid1(VALU_DEP_2)
	v_add_co_u32 v3, vcc_lo, v6, v14
	v_add_co_ci_u32_e32 v8, vcc_lo, v7, v15, vcc_lo
	s_delay_alu instid0(VALU_DEP_4) | instskip(NEXT) | instid1(VALU_DEP_1)
	v_add_co_ci_u32_e32 v11, vcc_lo, 0, v11, vcc_lo
	v_add_nc_u64_e32 v[6:7], v[8:9], v[10:11]
	s_delay_alu instid0(VALU_DEP_1) | instskip(SKIP_1) | instid1(VALU_DEP_2)
	v_mul_u64_e32 v[8:9], s[18:19], v[6:7]
	v_add_nc_u64_e32 v[10:11], 2, v[6:7]
	v_sub_nc_u32_e32 v3, v1, v9
	s_delay_alu instid0(VALU_DEP_3) | instskip(NEXT) | instid1(VALU_DEP_1)
	v_sub_co_u32 v8, vcc_lo, v0, v8
	v_sub_co_ci_u32_e64 v15, null, v1, v9, vcc_lo
	s_delay_alu instid0(VALU_DEP_3) | instskip(NEXT) | instid1(VALU_DEP_3)
	v_subrev_co_ci_u32_e64 v3, null, s19, v3, vcc_lo
	v_sub_co_u32 v13, s2, v8, s18
	v_cmp_le_u32_e32 vcc_lo, s18, v8
	s_delay_alu instid0(VALU_DEP_3) | instskip(NEXT) | instid1(VALU_DEP_3)
	v_subrev_co_ci_u32_e64 v3, null, 0, v3, s2
	v_cmp_le_u32_e64 s2, s18, v13
	v_add_nc_u64_e32 v[8:9], 1, v[6:7]
	v_cndmask_b32_e64 v16, 0, -1, vcc_lo
	s_delay_alu instid0(VALU_DEP_4) | instskip(NEXT) | instid1(VALU_DEP_4)
	v_cmp_eq_u32_e32 vcc_lo, s19, v3
	v_cndmask_b32_e64 v13, 0, -1, s2
	v_cmp_le_u32_e64 s2, s19, v3
	s_delay_alu instid0(VALU_DEP_1) | instskip(SKIP_1) | instid1(VALU_DEP_2)
	v_cndmask_b32_e64 v14, 0, -1, s2
	v_cmp_eq_u32_e64 s2, s19, v15
	v_cndmask_b32_e32 v3, v14, v13, vcc_lo
	v_cmp_le_u32_e32 vcc_lo, s19, v15
	v_cndmask_b32_e64 v13, 0, -1, vcc_lo
	s_delay_alu instid0(VALU_DEP_3) | instskip(SKIP_1) | instid1(VALU_DEP_3)
	v_cmp_ne_u32_e32 vcc_lo, 0, v3
	v_cndmask_b32_e32 v9, v9, v11, vcc_lo
	v_dual_cndmask_b32 v3, v13, v16, s2 :: v_dual_cndmask_b32 v8, v8, v10, vcc_lo
	s_delay_alu instid0(VALU_DEP_1) | instskip(NEXT) | instid1(VALU_DEP_2)
	v_cmp_ne_u32_e32 vcc_lo, 0, v3
	v_dual_cndmask_b32 v7, v7, v9 :: v_dual_cndmask_b32 v6, v6, v8
.LBB9_15:
	s_or_saveexec_b32 s2, s34
	v_cvt_f32_u32_e32 v3, s18
	s_xor_b32 exec_lo, exec_lo, s2
	s_cbranch_execz .LBB9_17
; %bb.16:
	s_delay_alu instid0(VALU_DEP_1) | instskip(SKIP_2) | instid1(TRANS32_DEP_1)
	v_rcp_iflag_f32_e32 v6, v3
	s_sub_co_i32 s34, 0, s18
	v_nop
	v_mul_f32_e32 v6, 0x4f7ffffe, v6
	s_delay_alu instid0(VALU_DEP_1) | instskip(NEXT) | instid1(VALU_DEP_1)
	v_cvt_u32_f32_e32 v6, v6
	v_mul_lo_u32 v7, s34, v6
	s_delay_alu instid0(VALU_DEP_1) | instskip(NEXT) | instid1(VALU_DEP_1)
	v_mul_hi_u32 v7, v6, v7
	v_add_nc_u32_e32 v6, v6, v7
	s_delay_alu instid0(VALU_DEP_1) | instskip(NEXT) | instid1(VALU_DEP_1)
	v_mul_hi_u32 v6, v0, v6
	v_mul_lo_u32 v7, v6, s18
	s_delay_alu instid0(VALU_DEP_1) | instskip(NEXT) | instid1(VALU_DEP_1)
	v_dual_add_nc_u32 v8, 1, v6 :: v_dual_sub_nc_u32 v7, v0, v7
	v_subrev_nc_u32_e32 v9, s18, v7
	v_cmp_le_u32_e32 vcc_lo, s18, v7
	s_delay_alu instid0(VALU_DEP_2) | instskip(NEXT) | instid1(VALU_DEP_1)
	v_dual_cndmask_b32 v7, v7, v9 :: v_dual_cndmask_b32 v6, v6, v8
	v_cmp_le_u32_e32 vcc_lo, s18, v7
	s_delay_alu instid0(VALU_DEP_2) | instskip(NEXT) | instid1(VALU_DEP_1)
	v_dual_mov_b32 v7, 0 :: v_dual_add_nc_u32 v8, 1, v6
	v_cndmask_b32_e32 v6, v6, v8, vcc_lo
.LBB9_17:
	s_or_b32 exec_lo, exec_lo, s2
	s_delay_alu instid0(VALU_DEP_2) | instskip(SKIP_1) | instid1(VALU_DEP_1)
	v_dual_mov_b32 v10, 0 :: v_dual_bitop2_b32 v11, s21, v7 bitop3:0x54
                                        ; implicit-def: $vgpr8_vgpr9
	s_mov_b32 s2, exec_lo
	v_cmpx_ne_u64_e32 0, v[10:11]
	s_xor_b32 s34, exec_lo, s2
	s_cbranch_execz .LBB9_19
; %bb.18:
	s_fmamk_f32 s2, s33, 0x4f800000, s31
	s_mov_b32 s41, 0
	v_dual_mov_b32 v8, v6 :: v_dual_mov_b32 v9, v10
	s_delay_alu instid0(SALU_CYCLE_1) | instskip(SKIP_2) | instid1(TRANS32_DEP_1)
	v_s_rcp_f32 s2, s2
	v_dual_mov_b32 v12, v7 :: v_dual_mov_b32 v13, v10
	v_dual_mov_b32 v17, v10 :: v_dual_mov_b32 v11, v10
	s_mul_f32 s2, s2, 0x5f7ffffc
	s_delay_alu instid0(SALU_CYCLE_3) | instskip(NEXT) | instid1(SALU_CYCLE_3)
	s_mul_f32 s31, s2, 0x2f800000
	s_trunc_f32 s31, s31
	s_delay_alu instid0(SALU_CYCLE_3) | instskip(SKIP_1) | instid1(SALU_CYCLE_2)
	s_fmamk_f32 s2, s31, 0xcf800000, s2
	s_cvt_u32_f32 s37, s31
	s_cvt_u32_f32 s36, s2
	s_delay_alu instid0(SALU_CYCLE_3) | instskip(NEXT) | instid1(SALU_CYCLE_1)
	s_mul_u64 s[38:39], s[28:29], s[36:37]
	s_mul_hi_u32 s43, s36, s39
	s_mul_i32 s42, s36, s39
	s_mul_hi_u32 s40, s36, s38
	s_mul_i32 s31, s37, s38
	s_add_nc_u64 s[42:43], s[40:41], s[42:43]
	s_mul_hi_u32 s2, s37, s38
	s_mul_hi_u32 s33, s37, s39
	s_add_co_u32 s31, s42, s31
	s_add_co_ci_u32 s40, s43, s2
	s_mul_i32 s38, s37, s39
	s_add_co_ci_u32 s39, s33, 0
	s_delay_alu instid0(SALU_CYCLE_1) | instskip(NEXT) | instid1(SALU_CYCLE_1)
	s_add_nc_u64 s[38:39], s[40:41], s[38:39]
	s_add_co_u32 s36, s36, s38
	s_cselect_b32 s2, -1, 0
	s_delay_alu instid0(SALU_CYCLE_1) | instskip(SKIP_1) | instid1(SALU_CYCLE_1)
	s_cmp_lg_u32 s2, 0
	s_add_co_ci_u32 s37, s37, s39
	s_mul_u64 s[28:29], s[28:29], s[36:37]
	s_delay_alu instid0(SALU_CYCLE_1)
	s_mul_hi_u32 s39, s36, s29
	s_mul_i32 s38, s36, s29
	s_mul_hi_u32 s40, s36, s28
	s_mul_i32 s31, s37, s28
	s_add_nc_u64 s[38:39], s[40:41], s[38:39]
	s_mul_hi_u32 s2, s37, s28
	s_mul_hi_u32 s33, s37, s29
	s_mul_i32 s28, s37, s29
	s_add_co_u32 s29, s38, s31
	s_add_co_ci_u32 s40, s39, s2
	s_add_co_ci_u32 s29, s33, 0
	s_delay_alu instid0(SALU_CYCLE_1) | instskip(NEXT) | instid1(SALU_CYCLE_1)
	s_add_nc_u64 s[28:29], s[40:41], s[28:29]
	s_add_co_u32 s2, s36, s28
	s_cselect_b32 s28, -1, 0
	v_mul_hi_u32 v16, v6, s2
	s_cmp_lg_u32 s28, 0
	s_add_co_ci_u32 s40, s37, s29
	s_mov_b64 s[28:29], 0xffffffff
	v_mul_u64_e32 v[8:9], s[40:41], v[8:9]
	s_and_b64 s[28:29], s[2:3], s[28:29]
	s_delay_alu instid0(SALU_CYCLE_1) | instskip(SKIP_1) | instid1(VALU_DEP_3)
	v_mul_u64_e32 v[14:15], s[28:29], v[12:13]
	v_mul_u64_e32 v[12:13], s[40:41], v[12:13]
	v_add_nc_u64_e32 v[8:9], v[16:17], v[8:9]
	s_delay_alu instid0(VALU_DEP_1) | instskip(NEXT) | instid1(VALU_DEP_2)
	v_add_co_u32 v8, vcc_lo, v8, v14
	v_add_co_ci_u32_e32 v10, vcc_lo, v9, v15, vcc_lo
	s_delay_alu instid0(VALU_DEP_4) | instskip(NEXT) | instid1(VALU_DEP_1)
	v_add_co_ci_u32_e32 v13, vcc_lo, 0, v13, vcc_lo
	v_add_nc_u64_e32 v[8:9], v[10:11], v[12:13]
	s_delay_alu instid0(VALU_DEP_1) | instskip(NEXT) | instid1(VALU_DEP_1)
	v_mul_u64_e32 v[10:11], s[20:21], v[8:9]
	v_sub_nc_u32_e32 v12, v7, v11
	s_delay_alu instid0(VALU_DEP_2) | instskip(NEXT) | instid1(VALU_DEP_1)
	v_sub_co_u32 v6, vcc_lo, v6, v10
	v_sub_co_ci_u32_e64 v11, null, v7, v11, vcc_lo
	s_delay_alu instid0(VALU_DEP_3) | instskip(NEXT) | instid1(VALU_DEP_3)
	v_subrev_co_ci_u32_e64 v10, null, s21, v12, vcc_lo
	v_sub_co_u32 v14, s2, v6, s20
	v_cmp_le_u32_e32 vcc_lo, s20, v6
	s_delay_alu instid0(VALU_DEP_3) | instskip(NEXT) | instid1(VALU_DEP_3)
	v_subrev_co_ci_u32_e64 v10, null, 0, v10, s2
	v_cmp_le_u32_e64 s2, s20, v14
	v_add_nc_u64_e32 v[12:13], 2, v[8:9]
	v_cndmask_b32_e64 v16, 0, -1, vcc_lo
	s_delay_alu instid0(VALU_DEP_4) | instskip(SKIP_3) | instid1(VALU_DEP_1)
	v_cmp_eq_u32_e32 vcc_lo, s21, v10
	v_add_nc_u64_e32 v[6:7], 1, v[8:9]
	v_cndmask_b32_e64 v14, 0, -1, s2
	v_cmp_le_u32_e64 s2, s21, v10
	v_cndmask_b32_e64 v15, 0, -1, s2
	v_cmp_eq_u32_e64 s2, s21, v11
	s_delay_alu instid0(VALU_DEP_2) | instskip(SKIP_2) | instid1(VALU_DEP_3)
	v_cndmask_b32_e32 v10, v15, v14, vcc_lo
	v_cmp_le_u32_e32 vcc_lo, s21, v11
	v_cndmask_b32_e64 v14, 0, -1, vcc_lo
	v_cmp_ne_u32_e32 vcc_lo, 0, v10
	s_delay_alu instid0(VALU_DEP_2) | instskip(SKIP_1) | instid1(VALU_DEP_2)
	v_cndmask_b32_e64 v10, v14, v16, s2
	v_dual_cndmask_b32 v6, v6, v12 :: v_dual_cndmask_b32 v7, v7, v13
                                        ; implicit-def: $vgpr12
	v_cmp_ne_u32_e32 vcc_lo, 0, v10
	s_delay_alu instid0(VALU_DEP_2)
	v_dual_cndmask_b32 v8, v8, v6 :: v_dual_cndmask_b32 v9, v9, v7
                                        ; implicit-def: $vgpr6_vgpr7
.LBB9_19:
	s_and_not1_saveexec_b32 s2, s34
	s_cbranch_execz .LBB9_21
; %bb.20:
	v_rcp_iflag_f32_e32 v7, v12
	s_sub_co_i32 s21, 0, s20
	v_nop
	s_delay_alu instid0(TRANS32_DEP_1) | instskip(NEXT) | instid1(VALU_DEP_1)
	v_mul_f32_e32 v7, 0x4f7ffffe, v7
	v_cvt_u32_f32_e32 v7, v7
	s_delay_alu instid0(VALU_DEP_1) | instskip(NEXT) | instid1(VALU_DEP_1)
	v_mul_lo_u32 v8, s21, v7
	v_mul_hi_u32 v8, v7, v8
	s_delay_alu instid0(VALU_DEP_1) | instskip(NEXT) | instid1(VALU_DEP_1)
	v_add_nc_u32_e32 v7, v7, v8
	v_mul_hi_u32 v7, v6, v7
	s_delay_alu instid0(VALU_DEP_1) | instskip(NEXT) | instid1(VALU_DEP_1)
	v_mul_lo_u32 v8, v7, s20
	v_dual_sub_nc_u32 v6, v6, v8 :: v_dual_add_nc_u32 v8, 1, v7
	s_delay_alu instid0(VALU_DEP_1) | instskip(SKIP_1) | instid1(VALU_DEP_2)
	v_subrev_nc_u32_e32 v9, s20, v6
	v_cmp_le_u32_e32 vcc_lo, s20, v6
	v_dual_cndmask_b32 v6, v6, v9 :: v_dual_mov_b32 v9, 0
	s_delay_alu instid0(VALU_DEP_4) | instskip(NEXT) | instid1(VALU_DEP_2)
	v_cndmask_b32_e32 v7, v7, v8, vcc_lo
	v_cmp_le_u32_e32 vcc_lo, s20, v6
	s_delay_alu instid0(VALU_DEP_2) | instskip(NEXT) | instid1(VALU_DEP_1)
	v_add_nc_u32_e32 v8, 1, v7
	v_cndmask_b32_e32 v8, v7, v8, vcc_lo
.LBB9_21:
	s_or_b32 exec_lo, exec_lo, s2
	s_delay_alu instid0(VALU_DEP_1) | instskip(SKIP_1) | instid1(VALU_DEP_1)
	v_dual_mov_b32 v10, 0 :: v_dual_bitop2_b32 v11, s17, v9 bitop3:0x54
                                        ; implicit-def: $vgpr6_vgpr7
	s_mov_b32 s2, exec_lo
	v_cmpx_ne_u64_e32 0, v[10:11]
	s_xor_b32 s21, exec_lo, s2
	s_cbranch_execz .LBB9_23
; %bb.22:
	s_cvt_f32_u32 s2, s16
	s_cvt_f32_u32 s28, s17
	s_sub_nc_u64 s[34:35], 0, s[16:17]
	s_mov_b32 s39, 0
	v_dual_mov_b32 v6, v8 :: v_dual_mov_b32 v7, v10
	s_fmamk_f32 s2, s28, 0x4f800000, s2
	v_dual_mov_b32 v12, v9 :: v_dual_mov_b32 v13, v10
	v_dual_mov_b32 v17, v10 :: v_dual_mov_b32 v11, v10
	s_delay_alu instid0(SALU_CYCLE_1) | instskip(NEXT) | instid1(TRANS32_DEP_1)
	v_s_rcp_f32 s2, s2
	s_mul_f32 s2, s2, 0x5f7ffffc
	s_delay_alu instid0(SALU_CYCLE_3) | instskip(NEXT) | instid1(SALU_CYCLE_3)
	s_mul_f32 s28, s2, 0x2f800000
	s_trunc_f32 s28, s28
	s_delay_alu instid0(SALU_CYCLE_3) | instskip(SKIP_1) | instid1(SALU_CYCLE_2)
	s_fmamk_f32 s2, s28, 0xcf800000, s2
	s_cvt_u32_f32 s29, s28
	s_cvt_u32_f32 s28, s2
	s_delay_alu instid0(SALU_CYCLE_3) | instskip(NEXT) | instid1(SALU_CYCLE_1)
	s_mul_u64 s[36:37], s[34:35], s[28:29]
	s_mul_hi_u32 s41, s28, s37
	s_mul_i32 s40, s28, s37
	s_mul_hi_u32 s38, s28, s36
	s_mul_i32 s31, s29, s36
	s_add_nc_u64 s[40:41], s[38:39], s[40:41]
	s_mul_hi_u32 s2, s29, s36
	s_mul_hi_u32 s33, s29, s37
	s_add_co_u32 s31, s40, s31
	s_add_co_ci_u32 s38, s41, s2
	s_mul_i32 s36, s29, s37
	s_add_co_ci_u32 s37, s33, 0
	s_delay_alu instid0(SALU_CYCLE_1) | instskip(NEXT) | instid1(SALU_CYCLE_1)
	s_add_nc_u64 s[36:37], s[38:39], s[36:37]
	s_add_co_u32 s28, s28, s36
	s_cselect_b32 s2, -1, 0
	s_delay_alu instid0(SALU_CYCLE_1) | instskip(SKIP_1) | instid1(SALU_CYCLE_1)
	s_cmp_lg_u32 s2, 0
	s_add_co_ci_u32 s29, s29, s37
	s_mul_u64 s[34:35], s[34:35], s[28:29]
	s_delay_alu instid0(SALU_CYCLE_1)
	s_mul_hi_u32 s37, s28, s35
	s_mul_i32 s36, s28, s35
	s_mul_hi_u32 s38, s28, s34
	s_mul_i32 s31, s29, s34
	s_add_nc_u64 s[36:37], s[38:39], s[36:37]
	s_mul_hi_u32 s2, s29, s34
	s_mul_hi_u32 s33, s29, s35
	s_add_co_u32 s31, s36, s31
	s_add_co_ci_u32 s38, s37, s2
	s_mul_i32 s34, s29, s35
	s_add_co_ci_u32 s35, s33, 0
	s_delay_alu instid0(SALU_CYCLE_1) | instskip(NEXT) | instid1(SALU_CYCLE_1)
	s_add_nc_u64 s[34:35], s[38:39], s[34:35]
	s_add_co_u32 s2, s28, s34
	s_cselect_b32 s28, -1, 0
	v_nop
	v_mul_hi_u32 v16, v8, s2
	s_cmp_lg_u32 s28, 0
	s_add_co_ci_u32 s38, s29, s35
	s_mov_b64 s[28:29], 0xffffffff
	v_mul_u64_e32 v[6:7], s[38:39], v[6:7]
	s_and_b64 s[28:29], s[2:3], s[28:29]
	s_delay_alu instid0(SALU_CYCLE_1) | instskip(SKIP_1) | instid1(VALU_DEP_3)
	v_mul_u64_e32 v[14:15], s[28:29], v[12:13]
	v_mul_u64_e32 v[12:13], s[38:39], v[12:13]
	v_add_nc_u64_e32 v[6:7], v[16:17], v[6:7]
	s_delay_alu instid0(VALU_DEP_1) | instskip(NEXT) | instid1(VALU_DEP_2)
	v_add_co_u32 v6, vcc_lo, v6, v14
	v_add_co_ci_u32_e32 v10, vcc_lo, v7, v15, vcc_lo
	s_delay_alu instid0(VALU_DEP_4) | instskip(NEXT) | instid1(VALU_DEP_1)
	v_add_co_ci_u32_e32 v13, vcc_lo, 0, v13, vcc_lo
	v_add_nc_u64_e32 v[6:7], v[10:11], v[12:13]
	s_delay_alu instid0(VALU_DEP_1) | instskip(NEXT) | instid1(VALU_DEP_1)
	v_mul_u64_e32 v[6:7], s[16:17], v[6:7]
	v_sub_nc_u32_e32 v10, v9, v7
	s_delay_alu instid0(VALU_DEP_2) | instskip(NEXT) | instid1(VALU_DEP_1)
	v_sub_co_u32 v6, vcc_lo, v8, v6
	v_sub_co_ci_u32_e64 v7, null, v9, v7, vcc_lo
	s_delay_alu instid0(VALU_DEP_3) | instskip(NEXT) | instid1(VALU_DEP_3)
	v_subrev_co_ci_u32_e64 v8, null, s17, v10, vcc_lo
	v_sub_co_u32 v9, vcc_lo, v6, s16
	v_cmp_le_u32_e64 s2, s16, v6
	s_delay_alu instid0(VALU_DEP_3) | instskip(SKIP_1) | instid1(VALU_DEP_3)
	v_subrev_co_ci_u32_e64 v10, null, 0, v8, vcc_lo
	v_subrev_co_ci_u32_e64 v8, null, s17, v8, vcc_lo
	v_cndmask_b32_e64 v11, 0, -1, s2
	v_cmp_le_u32_e64 s2, s16, v9
	v_cmp_le_u32_e32 vcc_lo, s17, v7
	s_delay_alu instid0(VALU_DEP_2) | instskip(SKIP_3) | instid1(VALU_DEP_3)
	v_cndmask_b32_e64 v12, 0, -1, s2
	v_cmp_le_u32_e64 s2, s17, v10
	v_cndmask_b32_e64 v14, 0, -1, vcc_lo
	v_cmp_eq_u32_e32 vcc_lo, s17, v10
	v_cndmask_b32_e64 v13, 0, -1, s2
	s_delay_alu instid0(VALU_DEP_1) | instskip(SKIP_1) | instid1(VALU_DEP_1)
	v_cndmask_b32_e32 v10, v13, v12, vcc_lo
	v_sub_co_u32 v12, vcc_lo, v9, s16
	v_subrev_co_ci_u32_e64 v8, null, 0, v8, vcc_lo
	v_cmp_eq_u32_e32 vcc_lo, s17, v7
	v_cndmask_b32_e32 v7, v14, v11, vcc_lo
	v_cmp_ne_u32_e32 vcc_lo, 0, v10
	v_cndmask_b32_e32 v8, v9, v12, vcc_lo
	s_delay_alu instid0(VALU_DEP_3) | instskip(NEXT) | instid1(VALU_DEP_2)
	v_cmp_ne_u32_e32 vcc_lo, 0, v7
	v_cndmask_b32_e32 v6, v6, v8, vcc_lo
                                        ; implicit-def: $vgpr8_vgpr9
.LBB9_23:
	s_and_not1_saveexec_b32 s2, s21
	s_cbranch_execz .LBB9_25
; %bb.24:
	v_cvt_f32_u32_e32 v6, s16
	s_sub_co_i32 s17, 0, s16
	s_delay_alu instid0(VALU_DEP_1) | instskip(SKIP_1) | instid1(TRANS32_DEP_1)
	v_rcp_iflag_f32_e32 v6, v6
	v_nop
	v_mul_f32_e32 v6, 0x4f7ffffe, v6
	s_delay_alu instid0(VALU_DEP_1) | instskip(NEXT) | instid1(VALU_DEP_1)
	v_cvt_u32_f32_e32 v6, v6
	v_mul_lo_u32 v7, s17, v6
	s_delay_alu instid0(VALU_DEP_1) | instskip(NEXT) | instid1(VALU_DEP_1)
	v_mul_hi_u32 v7, v6, v7
	v_add_nc_u32_e32 v6, v6, v7
	s_delay_alu instid0(VALU_DEP_1) | instskip(NEXT) | instid1(VALU_DEP_1)
	v_mul_hi_u32 v6, v8, v6
	v_mul_lo_u32 v6, v6, s16
	s_delay_alu instid0(VALU_DEP_1) | instskip(NEXT) | instid1(VALU_DEP_1)
	v_sub_nc_u32_e32 v6, v8, v6
	v_subrev_nc_u32_e32 v7, s16, v6
	v_cmp_le_u32_e32 vcc_lo, s16, v6
	s_delay_alu instid0(VALU_DEP_2) | instskip(NEXT) | instid1(VALU_DEP_1)
	v_cndmask_b32_e32 v6, v6, v7, vcc_lo
	v_subrev_nc_u32_e32 v7, s16, v6
	v_cmp_le_u32_e32 vcc_lo, s16, v6
	s_delay_alu instid0(VALU_DEP_2)
	v_cndmask_b32_e32 v6, v6, v7, vcc_lo
.LBB9_25:
	s_or_b32 exec_lo, exec_lo, s2
	v_dual_mov_b32 v8, 0 :: v_dual_bitop2_b32 v9, s19, v5 bitop3:0x54
                                        ; implicit-def: $vgpr10_vgpr11
	s_mov_b32 s2, exec_lo
	s_delay_alu instid0(VALU_DEP_1)
	v_cmpx_ne_u64_e32 0, v[8:9]
	s_xor_b32 s16, exec_lo, s2
	s_cbranch_execz .LBB9_27
; %bb.26:
	s_fmamk_f32 s2, s30, 0x4f800000, s3
	s_mov_b32 s31, 0
	v_dual_mov_b32 v10, v4 :: v_dual_mov_b32 v11, v8
	s_delay_alu instid0(SALU_CYCLE_1) | instskip(SKIP_2) | instid1(TRANS32_DEP_1)
	v_s_rcp_f32 s2, s2
	v_dual_mov_b32 v12, v5 :: v_dual_mov_b32 v13, v8
	v_dual_mov_b32 v17, v8 :: v_dual_mov_b32 v9, v8
	s_mul_f32 s2, s2, 0x5f7ffffc
	s_delay_alu instid0(SALU_CYCLE_3) | instskip(NEXT) | instid1(SALU_CYCLE_3)
	s_mul_f32 s3, s2, 0x2f800000
	s_trunc_f32 s3, s3
	s_delay_alu instid0(SALU_CYCLE_3) | instskip(SKIP_1) | instid1(SALU_CYCLE_2)
	s_fmamk_f32 s2, s3, 0xcf800000, s2
	s_cvt_u32_f32 s3, s3
	s_cvt_u32_f32 s2, s2
	s_delay_alu instid0(SALU_CYCLE_3) | instskip(NEXT) | instid1(SALU_CYCLE_1)
	s_mul_u64 s[28:29], s[26:27], s[2:3]
	s_mul_hi_u32 s35, s2, s29
	s_mul_i32 s34, s2, s29
	s_mul_hi_u32 s30, s2, s28
	s_mul_i32 s21, s3, s28
	s_add_nc_u64 s[34:35], s[30:31], s[34:35]
	s_mul_hi_u32 s17, s3, s28
	s_mul_hi_u32 s33, s3, s29
	s_add_co_u32 s21, s34, s21
	s_add_co_ci_u32 s30, s35, s17
	s_mul_i32 s28, s3, s29
	s_add_co_ci_u32 s29, s33, 0
	s_delay_alu instid0(SALU_CYCLE_1) | instskip(NEXT) | instid1(SALU_CYCLE_1)
	s_add_nc_u64 s[28:29], s[30:31], s[28:29]
	s_add_co_u32 s2, s2, s28
	s_cselect_b32 s17, -1, 0
	s_delay_alu instid0(SALU_CYCLE_1) | instskip(SKIP_1) | instid1(SALU_CYCLE_1)
	s_cmp_lg_u32 s17, 0
	s_add_co_ci_u32 s3, s3, s29
	s_mul_u64 s[26:27], s[26:27], s[2:3]
	s_delay_alu instid0(SALU_CYCLE_1)
	s_mul_hi_u32 s29, s2, s27
	s_mul_i32 s28, s2, s27
	s_mul_hi_u32 s30, s2, s26
	s_mul_i32 s21, s3, s26
	s_add_nc_u64 s[28:29], s[30:31], s[28:29]
	s_mul_hi_u32 s17, s3, s26
	s_mul_hi_u32 s33, s3, s27
	s_add_co_u32 s21, s28, s21
	s_add_co_ci_u32 s30, s29, s17
	s_mul_i32 s26, s3, s27
	s_add_co_ci_u32 s27, s33, 0
	s_delay_alu instid0(SALU_CYCLE_1) | instskip(NEXT) | instid1(SALU_CYCLE_1)
	s_add_nc_u64 s[26:27], s[30:31], s[26:27]
	s_add_co_u32 s2, s2, s26
	s_cselect_b32 s17, -1, 0
	v_mul_hi_u32 v16, v4, s2
	s_cmp_lg_u32 s17, 0
	s_add_co_ci_u32 s30, s3, s27
	s_mov_b64 s[26:27], 0xffffffff
	v_mul_u64_e32 v[10:11], s[30:31], v[10:11]
	s_and_b64 s[26:27], s[2:3], s[26:27]
	s_delay_alu instid0(SALU_CYCLE_1) | instskip(SKIP_1) | instid1(VALU_DEP_3)
	v_mul_u64_e32 v[14:15], s[26:27], v[12:13]
	v_mul_u64_e32 v[12:13], s[30:31], v[12:13]
	v_add_nc_u64_e32 v[10:11], v[16:17], v[10:11]
	s_delay_alu instid0(VALU_DEP_1) | instskip(NEXT) | instid1(VALU_DEP_2)
	v_add_co_u32 v3, vcc_lo, v10, v14
	v_add_co_ci_u32_e32 v8, vcc_lo, v11, v15, vcc_lo
	s_delay_alu instid0(VALU_DEP_4) | instskip(NEXT) | instid1(VALU_DEP_1)
	v_add_co_ci_u32_e32 v13, vcc_lo, 0, v13, vcc_lo
	v_add_nc_u64_e32 v[8:9], v[8:9], v[12:13]
	s_delay_alu instid0(VALU_DEP_1) | instskip(NEXT) | instid1(VALU_DEP_1)
	v_mul_u64_e32 v[8:9], s[18:19], v[8:9]
	v_sub_nc_u32_e32 v3, v5, v9
	s_delay_alu instid0(VALU_DEP_2) | instskip(NEXT) | instid1(VALU_DEP_1)
	v_sub_co_u32 v7, vcc_lo, v4, v8
	v_sub_co_ci_u32_e64 v5, null, v5, v9, vcc_lo
	s_delay_alu instid0(VALU_DEP_3) | instskip(NEXT) | instid1(VALU_DEP_3)
	v_subrev_co_ci_u32_e64 v3, null, s19, v3, vcc_lo
	v_sub_co_u32 v8, vcc_lo, v7, s18
	v_cmp_le_u32_e64 s2, s18, v7
	s_delay_alu instid0(VALU_DEP_3) | instskip(SKIP_1) | instid1(VALU_DEP_3)
	v_subrev_co_ci_u32_e64 v9, null, 0, v3, vcc_lo
	v_subrev_co_ci_u32_e64 v3, null, s19, v3, vcc_lo
	v_cndmask_b32_e64 v10, 0, -1, s2
	v_cmp_le_u32_e64 s2, s18, v8
	v_cmp_le_u32_e32 vcc_lo, s19, v5
	s_delay_alu instid0(VALU_DEP_2) | instskip(SKIP_3) | instid1(VALU_DEP_3)
	v_cndmask_b32_e64 v11, 0, -1, s2
	v_cmp_le_u32_e64 s2, s19, v9
	v_cndmask_b32_e64 v13, 0, -1, vcc_lo
	v_cmp_eq_u32_e32 vcc_lo, s19, v9
	v_cndmask_b32_e64 v12, 0, -1, s2
	s_delay_alu instid0(VALU_DEP_1) | instskip(SKIP_1) | instid1(VALU_DEP_1)
	v_cndmask_b32_e32 v9, v12, v11, vcc_lo
	v_sub_co_u32 v11, vcc_lo, v8, s18
	v_subrev_co_ci_u32_e64 v3, null, 0, v3, vcc_lo
	v_cmp_eq_u32_e32 vcc_lo, s19, v5
	v_cndmask_b32_e32 v3, v13, v10, vcc_lo
	v_cmp_ne_u32_e32 vcc_lo, 0, v9
	v_cndmask_b32_e32 v5, v8, v11, vcc_lo
	s_delay_alu instid0(VALU_DEP_3) | instskip(NEXT) | instid1(VALU_DEP_2)
	v_cmp_ne_u32_e32 vcc_lo, 0, v3
                                        ; implicit-def: $vgpr3
	v_cndmask_b32_e32 v10, v7, v5, vcc_lo
.LBB9_27:
	s_and_not1_saveexec_b32 s2, s16
	s_cbranch_execz .LBB9_29
; %bb.28:
	v_rcp_iflag_f32_e32 v3, v3
	s_sub_co_i32 s3, 0, s18
	v_nop
	s_delay_alu instid0(TRANS32_DEP_1) | instskip(NEXT) | instid1(VALU_DEP_1)
	v_mul_f32_e32 v3, 0x4f7ffffe, v3
	v_cvt_u32_f32_e32 v3, v3
	s_delay_alu instid0(VALU_DEP_1) | instskip(NEXT) | instid1(VALU_DEP_1)
	v_mul_lo_u32 v5, s3, v3
	v_mul_hi_u32 v5, v3, v5
	s_delay_alu instid0(VALU_DEP_1) | instskip(NEXT) | instid1(VALU_DEP_1)
	v_add_nc_u32_e32 v3, v3, v5
	v_mul_hi_u32 v3, v4, v3
	s_delay_alu instid0(VALU_DEP_1) | instskip(NEXT) | instid1(VALU_DEP_1)
	v_mul_lo_u32 v3, v3, s18
	v_sub_nc_u32_e32 v3, v4, v3
	s_delay_alu instid0(VALU_DEP_1) | instskip(SKIP_1) | instid1(VALU_DEP_2)
	v_subrev_nc_u32_e32 v5, s18, v3
	v_cmp_le_u32_e32 vcc_lo, s18, v3
	v_cndmask_b32_e32 v3, v3, v5, vcc_lo
	s_delay_alu instid0(VALU_DEP_1) | instskip(SKIP_1) | instid1(VALU_DEP_2)
	v_subrev_nc_u32_e32 v5, s18, v3
	v_cmp_le_u32_e32 vcc_lo, s18, v3
	v_cndmask_b32_e32 v10, v3, v5, vcc_lo
.LBB9_29:
	s_or_b32 exec_lo, exec_lo, s2
	v_mul_lo_u32 v3, v4, s20
	s_load_b96 s[0:2], s[0:1], 0x50
	s_delay_alu instid0(VALU_DEP_2) | instskip(SKIP_1) | instid1(VALU_DEP_2)
	v_cvt_f32_i32_e32 v4, v10
	v_cvt_f32_i32_e32 v5, v6
	v_dual_ashrrev_i32 v8, 31, v2 :: v_dual_add_f32 v4, 0.5, v4
	s_delay_alu instid0(VALU_DEP_2) | instskip(SKIP_1) | instid1(VALU_DEP_2)
	v_dual_add_f32 v5, 0.5, v5 :: v_dual_sub_nc_u32 v3, v0, v3
	v_add_nc_u64_e32 v[0:1], s[22:23], v[0:1]
	v_cvt_f32_i32_e32 v3, v3
	s_wait_kmcnt 0x0
	s_delay_alu instid0(VALU_DEP_1) | instskip(SKIP_2) | instid1(VALU_DEP_2)
	v_dual_add_f32 v3, 0.5, v3 :: v_dual_mul_f32 v6, s1, v4
	v_mul_f32_e32 v5, s0, v5
	s_mul_u64 s[0:1], s[14:15], s[12:13]
	v_mul_f32_e32 v3, s2, v3
	s_mul_u64 s[0:1], s[0:1], s[10:11]
	s_mov_b64 s[2:3], 0
	s_delay_alu instid0(VALU_DEP_1) | instskip(NEXT) | instid1(VALU_DEP_1)
	v_floor_f32_e32 v3, v3
	v_cvt_i32_f32_e32 v3, v3
	s_delay_alu instid0(VALU_DEP_1) | instskip(SKIP_2) | instid1(VALU_DEP_3)
	v_add_min_i32_e64 v4, s14, -1, v3
	v_floor_f32_e32 v3, v6
	v_floor_f32_e32 v6, v5
	v_ashrrev_i32_e32 v5, 31, v4
	s_delay_alu instid0(VALU_DEP_3) | instskip(NEXT) | instid1(VALU_DEP_3)
	v_cvt_i32_f32_e32 v3, v3
	v_cvt_i32_f32_e32 v7, v6
	s_delay_alu instid0(VALU_DEP_3) | instskip(NEXT) | instid1(VALU_DEP_3)
	v_mad_nc_u64_u32 v[4:5], v2, s0, v[4:5]
	v_add_min_i32_e64 v6, s12, -1, v3
	s_delay_alu instid0(VALU_DEP_3) | instskip(NEXT) | instid1(VALU_DEP_2)
	v_add_min_i32_e64 v3, s10, -1, v7
	v_ashrrev_i32_e32 v7, 31, v6
	s_delay_alu instid0(VALU_DEP_1) | instskip(SKIP_1) | instid1(VALU_DEP_2)
	v_mad_nc_u64_u32 v[6:7], s12, v3, v[6:7]
	v_mad_u32 v5, v8, s0, v5
	v_mad_u32 v7, s13, v3, v7
	s_delay_alu instid0(VALU_DEP_2) | instskip(SKIP_2) | instid1(VALU_DEP_1)
	v_mad_u32 v5, v2, s1, v5
	v_ashrrev_i32_e32 v2, 31, v3
	s_mul_u64 s[0:1], s[0:1], s[8:9]
	v_mad_u32 v7, s12, v2, v7
	s_delay_alu instid0(VALU_DEP_3) | instskip(NEXT) | instid1(VALU_DEP_1)
	v_mad_nc_u64_u32 v[2:3], v6, s14, v[4:5]
	v_mad_u32 v3, v7, s14, v3
	s_delay_alu instid0(VALU_DEP_1)
	v_mad_u32 v3, v6, s15, v3
.LBB9_30:                               ; =>This Inner Loop Header: Depth=1
	s_delay_alu instid0(VALU_DEP_1)
	v_add_nc_u64_e32 v[4:5], s[4:5], v[2:3]
	s_add_nc_u64 s[2:3], s[2:3], 1
	v_add_nc_u64_e32 v[2:3], s[0:1], v[2:3]
	v_cmp_gt_u64_e64 s8, s[6:7], s[2:3]
	global_load_u8 v4, v[4:5], off
	s_and_b32 vcc_lo, exec_lo, s8
	s_wait_loadcnt 0x0
	global_store_b8 v[0:1], v4, off
	s_wait_xcnt 0x0
	v_add_nc_u64_e32 v[0:1], s[24:25], v[0:1]
	s_cbranch_vccnz .LBB9_30
.LBB9_31:
	s_endpgm
	.section	.rodata,"a",@progbits
	.p2align	6, 0x0
	.amdhsa_kernel _ZN2at6native12_GLOBAL__N_128upsample_nearest3d_out_frameIhXadL_ZNS0_43nearest_neighbor_exact_compute_source_indexEfiiEEEEvPKT_mmmmmmmmPS3_fff
		.amdhsa_group_segment_fixed_size 0
		.amdhsa_private_segment_fixed_size 0
		.amdhsa_kernarg_size 352
		.amdhsa_user_sgpr_count 2
		.amdhsa_user_sgpr_dispatch_ptr 0
		.amdhsa_user_sgpr_queue_ptr 0
		.amdhsa_user_sgpr_kernarg_segment_ptr 1
		.amdhsa_user_sgpr_dispatch_id 0
		.amdhsa_user_sgpr_kernarg_preload_length 0
		.amdhsa_user_sgpr_kernarg_preload_offset 0
		.amdhsa_user_sgpr_private_segment_size 0
		.amdhsa_wavefront_size32 1
		.amdhsa_uses_dynamic_stack 0
		.amdhsa_enable_private_segment 0
		.amdhsa_system_sgpr_workgroup_id_x 1
		.amdhsa_system_sgpr_workgroup_id_y 0
		.amdhsa_system_sgpr_workgroup_id_z 0
		.amdhsa_system_sgpr_workgroup_info 0
		.amdhsa_system_vgpr_workitem_id 0
		.amdhsa_next_free_vgpr 18
		.amdhsa_next_free_sgpr 45
		.amdhsa_named_barrier_count 0
		.amdhsa_reserve_vcc 1
		.amdhsa_float_round_mode_32 0
		.amdhsa_float_round_mode_16_64 0
		.amdhsa_float_denorm_mode_32 3
		.amdhsa_float_denorm_mode_16_64 3
		.amdhsa_fp16_overflow 0
		.amdhsa_memory_ordered 1
		.amdhsa_forward_progress 1
		.amdhsa_inst_pref_size 43
		.amdhsa_round_robin_scheduling 0
		.amdhsa_exception_fp_ieee_invalid_op 0
		.amdhsa_exception_fp_denorm_src 0
		.amdhsa_exception_fp_ieee_div_zero 0
		.amdhsa_exception_fp_ieee_overflow 0
		.amdhsa_exception_fp_ieee_underflow 0
		.amdhsa_exception_fp_ieee_inexact 0
		.amdhsa_exception_int_div_zero 0
	.end_amdhsa_kernel
	.section	.text._ZN2at6native12_GLOBAL__N_128upsample_nearest3d_out_frameIhXadL_ZNS0_43nearest_neighbor_exact_compute_source_indexEfiiEEEEvPKT_mmmmmmmmPS3_fff,"axG",@progbits,_ZN2at6native12_GLOBAL__N_128upsample_nearest3d_out_frameIhXadL_ZNS0_43nearest_neighbor_exact_compute_source_indexEfiiEEEEvPKT_mmmmmmmmPS3_fff,comdat
.Lfunc_end9:
	.size	_ZN2at6native12_GLOBAL__N_128upsample_nearest3d_out_frameIhXadL_ZNS0_43nearest_neighbor_exact_compute_source_indexEfiiEEEEvPKT_mmmmmmmmPS3_fff, .Lfunc_end9-_ZN2at6native12_GLOBAL__N_128upsample_nearest3d_out_frameIhXadL_ZNS0_43nearest_neighbor_exact_compute_source_indexEfiiEEEEvPKT_mmmmmmmmPS3_fff
                                        ; -- End function
	.set _ZN2at6native12_GLOBAL__N_128upsample_nearest3d_out_frameIhXadL_ZNS0_43nearest_neighbor_exact_compute_source_indexEfiiEEEEvPKT_mmmmmmmmPS3_fff.num_vgpr, 18
	.set _ZN2at6native12_GLOBAL__N_128upsample_nearest3d_out_frameIhXadL_ZNS0_43nearest_neighbor_exact_compute_source_indexEfiiEEEEvPKT_mmmmmmmmPS3_fff.num_agpr, 0
	.set _ZN2at6native12_GLOBAL__N_128upsample_nearest3d_out_frameIhXadL_ZNS0_43nearest_neighbor_exact_compute_source_indexEfiiEEEEvPKT_mmmmmmmmPS3_fff.numbered_sgpr, 45
	.set _ZN2at6native12_GLOBAL__N_128upsample_nearest3d_out_frameIhXadL_ZNS0_43nearest_neighbor_exact_compute_source_indexEfiiEEEEvPKT_mmmmmmmmPS3_fff.num_named_barrier, 0
	.set _ZN2at6native12_GLOBAL__N_128upsample_nearest3d_out_frameIhXadL_ZNS0_43nearest_neighbor_exact_compute_source_indexEfiiEEEEvPKT_mmmmmmmmPS3_fff.private_seg_size, 0
	.set _ZN2at6native12_GLOBAL__N_128upsample_nearest3d_out_frameIhXadL_ZNS0_43nearest_neighbor_exact_compute_source_indexEfiiEEEEvPKT_mmmmmmmmPS3_fff.uses_vcc, 1
	.set _ZN2at6native12_GLOBAL__N_128upsample_nearest3d_out_frameIhXadL_ZNS0_43nearest_neighbor_exact_compute_source_indexEfiiEEEEvPKT_mmmmmmmmPS3_fff.uses_flat_scratch, 0
	.set _ZN2at6native12_GLOBAL__N_128upsample_nearest3d_out_frameIhXadL_ZNS0_43nearest_neighbor_exact_compute_source_indexEfiiEEEEvPKT_mmmmmmmmPS3_fff.has_dyn_sized_stack, 0
	.set _ZN2at6native12_GLOBAL__N_128upsample_nearest3d_out_frameIhXadL_ZNS0_43nearest_neighbor_exact_compute_source_indexEfiiEEEEvPKT_mmmmmmmmPS3_fff.has_recursion, 0
	.set _ZN2at6native12_GLOBAL__N_128upsample_nearest3d_out_frameIhXadL_ZNS0_43nearest_neighbor_exact_compute_source_indexEfiiEEEEvPKT_mmmmmmmmPS3_fff.has_indirect_call, 0
	.section	.AMDGPU.csdata,"",@progbits
; Kernel info:
; codeLenInByte = 5388
; TotalNumSgprs: 47
; NumVgprs: 18
; ScratchSize: 0
; MemoryBound: 0
; FloatMode: 240
; IeeeMode: 1
; LDSByteSize: 0 bytes/workgroup (compile time only)
; SGPRBlocks: 0
; VGPRBlocks: 1
; NumSGPRsForWavesPerEU: 47
; NumVGPRsForWavesPerEU: 18
; NamedBarCnt: 0
; Occupancy: 16
; WaveLimiterHint : 0
; COMPUTE_PGM_RSRC2:SCRATCH_EN: 0
; COMPUTE_PGM_RSRC2:USER_SGPR: 2
; COMPUTE_PGM_RSRC2:TRAP_HANDLER: 0
; COMPUTE_PGM_RSRC2:TGID_X_EN: 1
; COMPUTE_PGM_RSRC2:TGID_Y_EN: 0
; COMPUTE_PGM_RSRC2:TGID_Z_EN: 0
; COMPUTE_PGM_RSRC2:TIDIG_COMP_CNT: 0
	.section	.text._ZN2at6native12_GLOBAL__N_137upsample_nearest3d_backward_out_frameIddXadL_ZNS0_40nearest_neighbor_bw_compute_source_indexEfiiEEEEvPKT_mmmmmmmmPS3_fff,"axG",@progbits,_ZN2at6native12_GLOBAL__N_137upsample_nearest3d_backward_out_frameIddXadL_ZNS0_40nearest_neighbor_bw_compute_source_indexEfiiEEEEvPKT_mmmmmmmmPS3_fff,comdat
	.globl	_ZN2at6native12_GLOBAL__N_137upsample_nearest3d_backward_out_frameIddXadL_ZNS0_40nearest_neighbor_bw_compute_source_indexEfiiEEEEvPKT_mmmmmmmmPS3_fff ; -- Begin function _ZN2at6native12_GLOBAL__N_137upsample_nearest3d_backward_out_frameIddXadL_ZNS0_40nearest_neighbor_bw_compute_source_indexEfiiEEEEvPKT_mmmmmmmmPS3_fff
	.p2align	8
	.type	_ZN2at6native12_GLOBAL__N_137upsample_nearest3d_backward_out_frameIddXadL_ZNS0_40nearest_neighbor_bw_compute_source_indexEfiiEEEEvPKT_mmmmmmmmPS3_fff,@function
_ZN2at6native12_GLOBAL__N_137upsample_nearest3d_backward_out_frameIddXadL_ZNS0_40nearest_neighbor_bw_compute_source_indexEfiiEEEEvPKT_mmmmmmmmPS3_fff: ; @_ZN2at6native12_GLOBAL__N_137upsample_nearest3d_backward_out_frameIddXadL_ZNS0_40nearest_neighbor_bw_compute_source_indexEfiiEEEEvPKT_mmmmmmmmPS3_fff
; %bb.0:
	s_clause 0x2
	s_load_b32 s2, s[0:1], 0x6c
	s_load_b512 s[4:19], s[0:1], 0x0
	s_load_b128 s[20:23], s[0:1], 0x40
	s_bfe_u32 s3, ttmp6, 0x4000c
	v_mov_b32_e32 v2, 0
	s_add_co_i32 s3, s3, 1
	s_and_b32 s24, ttmp6, 15
	s_mul_i32 s3, ttmp9, s3
	s_getreg_b32 s25, hwreg(HW_REG_IB_STS2, 6, 4)
	v_mov_b32_e32 v1, v2
	s_add_co_i32 s24, s24, s3
	s_wait_kmcnt 0x0
	s_and_b32 s2, s2, 0xffff
	s_cmp_eq_u32 s25, 0
	s_cselect_b32 s3, ttmp9, s24
	s_mul_u64 s[24:25], s[18:19], s[16:17]
	v_mad_nc_u64_u32 v[0:1], s2, s3, v[0:1]
	s_mul_u64 s[2:3], s[24:25], s[8:9]
	s_delay_alu instid0(SALU_CYCLE_1)
	s_mul_u64 s[2:3], s[2:3], s[20:21]
	s_delay_alu instid0(VALU_DEP_1) | instid1(SALU_CYCLE_1)
	v_cmp_gt_u64_e32 vcc_lo, s[2:3], v[0:1]
	s_and_saveexec_b32 s2, vcc_lo
	s_cbranch_execz .LBB10_44
; %bb.1:
	v_or_b32_e32 v3, s19, v1
	s_delay_alu instid0(VALU_DEP_1) | instskip(SKIP_1) | instid1(SALU_CYCLE_1)
	v_cmp_ne_u64_e32 vcc_lo, 0, v[2:3]
                                        ; implicit-def: $vgpr2_vgpr3
	s_and_saveexec_b32 s2, vcc_lo
	s_xor_b32 s3, exec_lo, s2
	s_cbranch_execz .LBB10_3
; %bb.2:
	s_cvt_f32_u32 s2, s18
	s_cvt_f32_u32 s26, s19
	s_sub_nc_u64 s[28:29], 0, s[18:19]
	s_mov_b32 s35, 0
	v_dual_mov_b32 v3, 0 :: v_dual_mov_b32 v2, v0
	s_fmamk_f32 s2, s26, 0x4f800000, s2
	s_delay_alu instid0(SALU_CYCLE_3) | instskip(NEXT) | instid1(TRANS32_DEP_1)
	v_s_rcp_f32 s2, s2
	s_mul_f32 s2, s2, 0x5f7ffffc
	s_delay_alu instid0(SALU_CYCLE_3) | instskip(NEXT) | instid1(SALU_CYCLE_3)
	s_mul_f32 s26, s2, 0x2f800000
	s_trunc_f32 s26, s26
	s_delay_alu instid0(SALU_CYCLE_3) | instskip(SKIP_1) | instid1(SALU_CYCLE_2)
	s_fmamk_f32 s2, s26, 0xcf800000, s2
	s_cvt_u32_f32 s27, s26
	s_cvt_u32_f32 s26, s2
	s_delay_alu instid0(SALU_CYCLE_3) | instskip(NEXT) | instid1(SALU_CYCLE_1)
	s_mul_u64 s[30:31], s[28:29], s[26:27]
	s_mul_hi_u32 s37, s26, s31
	s_mul_i32 s36, s26, s31
	s_mul_hi_u32 s34, s26, s30
	s_mul_i32 s33, s27, s30
	s_add_nc_u64 s[36:37], s[34:35], s[36:37]
	s_mul_hi_u32 s2, s27, s30
	s_mul_hi_u32 s38, s27, s31
	s_mul_i32 s30, s27, s31
	s_add_co_u32 s31, s36, s33
	s_add_co_ci_u32 s34, s37, s2
	s_add_co_ci_u32 s31, s38, 0
	s_delay_alu instid0(SALU_CYCLE_1) | instskip(NEXT) | instid1(SALU_CYCLE_1)
	s_add_nc_u64 s[30:31], s[34:35], s[30:31]
	s_add_co_u32 s26, s26, s30
	s_cselect_b32 s2, -1, 0
	s_delay_alu instid0(SALU_CYCLE_1) | instskip(SKIP_1) | instid1(SALU_CYCLE_1)
	s_cmp_lg_u32 s2, 0
	s_add_co_ci_u32 s27, s27, s31
	s_mul_u64 s[28:29], s[28:29], s[26:27]
	s_delay_alu instid0(SALU_CYCLE_1)
	s_mul_hi_u32 s31, s26, s29
	s_mul_i32 s30, s26, s29
	s_mul_hi_u32 s34, s26, s28
	s_mul_i32 s33, s27, s28
	s_add_nc_u64 s[30:31], s[34:35], s[30:31]
	s_mul_hi_u32 s2, s27, s28
	s_mul_hi_u32 s36, s27, s29
	s_mul_i32 s28, s27, s29
	s_add_co_u32 s29, s30, s33
	s_add_co_ci_u32 s34, s31, s2
	s_add_co_ci_u32 s29, s36, 0
	s_delay_alu instid0(SALU_CYCLE_1) | instskip(NEXT) | instid1(SALU_CYCLE_1)
	s_add_nc_u64 s[28:29], s[34:35], s[28:29]
	s_add_co_u32 s2, s26, s28
	s_cselect_b32 s26, -1, 0
	s_delay_alu instid0(SALU_CYCLE_1)
	s_cmp_lg_u32 s26, 0
	s_add_co_ci_u32 s34, s27, s29
	s_mov_b64 s[26:27], 0xffffffff
	v_mul_u64_e32 v[4:5], s[34:35], v[2:3]
	v_mul_hi_u32 v2, v0, s2
	s_and_b64 s[26:27], s[2:3], s[26:27]
	s_delay_alu instid0(VALU_DEP_1) | instskip(SKIP_1) | instid1(VALU_DEP_1)
	v_add_nc_u64_e32 v[4:5], v[2:3], v[4:5]
	v_mov_b32_e32 v2, v1
	v_mul_u64_e32 v[6:7], s[26:27], v[2:3]
	v_mul_u64_e32 v[8:9], s[34:35], v[2:3]
	s_delay_alu instid0(VALU_DEP_2) | instskip(NEXT) | instid1(VALU_DEP_3)
	v_add_co_u32 v2, vcc_lo, v4, v6
	v_add_co_ci_u32_e32 v2, vcc_lo, v5, v7, vcc_lo
	s_delay_alu instid0(VALU_DEP_3) | instskip(NEXT) | instid1(VALU_DEP_1)
	v_add_co_ci_u32_e32 v9, vcc_lo, 0, v9, vcc_lo
	v_add_nc_u64_e32 v[2:3], v[2:3], v[8:9]
	s_delay_alu instid0(VALU_DEP_1) | instskip(NEXT) | instid1(VALU_DEP_1)
	v_mul_u64_e32 v[4:5], s[18:19], v[2:3]
	v_sub_nc_u32_e32 v6, v1, v5
	s_delay_alu instid0(VALU_DEP_2) | instskip(NEXT) | instid1(VALU_DEP_1)
	v_sub_co_u32 v4, vcc_lo, v0, v4
	v_sub_co_ci_u32_e64 v11, null, v1, v5, vcc_lo
	s_delay_alu instid0(VALU_DEP_3) | instskip(NEXT) | instid1(VALU_DEP_3)
	v_subrev_co_ci_u32_e64 v6, null, s19, v6, vcc_lo
	v_sub_co_u32 v8, s2, v4, s18
	v_cmp_le_u32_e32 vcc_lo, s18, v4
	s_delay_alu instid0(VALU_DEP_3) | instskip(NEXT) | instid1(VALU_DEP_3)
	v_subrev_co_ci_u32_e64 v9, null, 0, v6, s2
	v_cmp_le_u32_e64 s2, s18, v8
	v_add_nc_u64_e32 v[6:7], 2, v[2:3]
	v_cndmask_b32_e64 v12, 0, -1, vcc_lo
	s_delay_alu instid0(VALU_DEP_4) | instskip(SKIP_3) | instid1(VALU_DEP_1)
	v_cmp_eq_u32_e32 vcc_lo, s19, v9
	v_add_nc_u64_e32 v[4:5], 1, v[2:3]
	v_cndmask_b32_e64 v8, 0, -1, s2
	v_cmp_le_u32_e64 s2, s19, v9
	v_cndmask_b32_e64 v10, 0, -1, s2
	v_cmp_eq_u32_e64 s2, s19, v11
	s_delay_alu instid0(VALU_DEP_2) | instskip(SKIP_2) | instid1(VALU_DEP_3)
	v_cndmask_b32_e32 v8, v10, v8, vcc_lo
	v_cmp_le_u32_e32 vcc_lo, s19, v11
	v_cndmask_b32_e64 v9, 0, -1, vcc_lo
	v_cmp_ne_u32_e32 vcc_lo, 0, v8
	s_delay_alu instid0(VALU_DEP_2) | instskip(SKIP_1) | instid1(VALU_DEP_2)
	v_dual_cndmask_b32 v8, v9, v12, s2 :: v_dual_cndmask_b32 v4, v4, v6, vcc_lo
	v_cndmask_b32_e32 v5, v5, v7, vcc_lo
	v_cmp_ne_u32_e32 vcc_lo, 0, v8
	s_delay_alu instid0(VALU_DEP_2)
	v_dual_cndmask_b32 v3, v3, v5 :: v_dual_cndmask_b32 v2, v2, v4
.LBB10_3:
	s_and_not1_saveexec_b32 s2, s3
	s_cbranch_execz .LBB10_5
; %bb.4:
	v_cvt_f32_u32_e32 v2, s18
	s_sub_co_i32 s3, 0, s18
	s_delay_alu instid0(VALU_DEP_1) | instskip(SKIP_1) | instid1(TRANS32_DEP_1)
	v_rcp_iflag_f32_e32 v2, v2
	v_nop
	v_mul_f32_e32 v2, 0x4f7ffffe, v2
	s_delay_alu instid0(VALU_DEP_1) | instskip(NEXT) | instid1(VALU_DEP_1)
	v_cvt_u32_f32_e32 v2, v2
	v_mul_lo_u32 v3, s3, v2
	s_delay_alu instid0(VALU_DEP_1) | instskip(NEXT) | instid1(VALU_DEP_1)
	v_mul_hi_u32 v3, v2, v3
	v_add_nc_u32_e32 v2, v2, v3
	s_delay_alu instid0(VALU_DEP_1) | instskip(NEXT) | instid1(VALU_DEP_1)
	v_mul_hi_u32 v2, v0, v2
	v_mul_lo_u32 v3, v2, s18
	s_delay_alu instid0(VALU_DEP_1) | instskip(NEXT) | instid1(VALU_DEP_1)
	v_dual_add_nc_u32 v4, 1, v2 :: v_dual_sub_nc_u32 v3, v0, v3
	v_subrev_nc_u32_e32 v5, s18, v3
	v_cmp_le_u32_e32 vcc_lo, s18, v3
	s_delay_alu instid0(VALU_DEP_2) | instskip(NEXT) | instid1(VALU_DEP_1)
	v_dual_cndmask_b32 v3, v3, v5 :: v_dual_cndmask_b32 v2, v2, v4
	v_cmp_le_u32_e32 vcc_lo, s18, v3
	s_delay_alu instid0(VALU_DEP_2) | instskip(NEXT) | instid1(VALU_DEP_1)
	v_dual_mov_b32 v3, 0 :: v_dual_add_nc_u32 v4, 1, v2
	v_cndmask_b32_e32 v2, v2, v4, vcc_lo
.LBB10_5:
	s_or_b32 exec_lo, exec_lo, s2
	s_delay_alu instid0(VALU_DEP_1) | instskip(SKIP_1) | instid1(VALU_DEP_1)
	v_dual_mov_b32 v6, 0 :: v_dual_bitop2_b32 v7, s21, v3 bitop3:0x54
                                        ; implicit-def: $vgpr4_vgpr5
	s_mov_b32 s2, exec_lo
	v_cmpx_ne_u64_e32 0, v[6:7]
	s_xor_b32 s3, exec_lo, s2
	s_cbranch_execz .LBB10_7
; %bb.6:
	s_cvt_f32_u32 s2, s20
	s_cvt_f32_u32 s26, s21
	s_sub_nc_u64 s[28:29], 0, s[20:21]
	s_mov_b32 s35, 0
	v_dual_mov_b32 v4, v2 :: v_dual_mov_b32 v5, v6
	s_fmamk_f32 s2, s26, 0x4f800000, s2
	v_dual_mov_b32 v8, v3 :: v_dual_mov_b32 v9, v6
	v_dual_mov_b32 v13, v6 :: v_dual_mov_b32 v7, v6
	s_delay_alu instid0(SALU_CYCLE_1) | instskip(NEXT) | instid1(TRANS32_DEP_1)
	v_s_rcp_f32 s2, s2
	s_mul_f32 s2, s2, 0x5f7ffffc
	s_delay_alu instid0(SALU_CYCLE_3) | instskip(NEXT) | instid1(SALU_CYCLE_3)
	s_mul_f32 s26, s2, 0x2f800000
	s_trunc_f32 s26, s26
	s_delay_alu instid0(SALU_CYCLE_3) | instskip(SKIP_1) | instid1(SALU_CYCLE_2)
	s_fmamk_f32 s2, s26, 0xcf800000, s2
	s_cvt_u32_f32 s27, s26
	s_cvt_u32_f32 s26, s2
	s_delay_alu instid0(SALU_CYCLE_3) | instskip(NEXT) | instid1(SALU_CYCLE_1)
	s_mul_u64 s[30:31], s[28:29], s[26:27]
	s_mul_hi_u32 s37, s26, s31
	s_mul_i32 s36, s26, s31
	s_mul_hi_u32 s34, s26, s30
	s_mul_i32 s33, s27, s30
	s_add_nc_u64 s[36:37], s[34:35], s[36:37]
	s_mul_hi_u32 s2, s27, s30
	s_mul_hi_u32 s38, s27, s31
	s_mul_i32 s30, s27, s31
	s_add_co_u32 s31, s36, s33
	s_add_co_ci_u32 s34, s37, s2
	s_add_co_ci_u32 s31, s38, 0
	s_delay_alu instid0(SALU_CYCLE_1) | instskip(NEXT) | instid1(SALU_CYCLE_1)
	s_add_nc_u64 s[30:31], s[34:35], s[30:31]
	s_add_co_u32 s26, s26, s30
	s_cselect_b32 s2, -1, 0
	s_delay_alu instid0(SALU_CYCLE_1) | instskip(SKIP_1) | instid1(SALU_CYCLE_1)
	s_cmp_lg_u32 s2, 0
	s_add_co_ci_u32 s27, s27, s31
	s_mul_u64 s[28:29], s[28:29], s[26:27]
	s_delay_alu instid0(SALU_CYCLE_1)
	s_mul_hi_u32 s31, s26, s29
	s_mul_i32 s30, s26, s29
	s_mul_hi_u32 s34, s26, s28
	s_mul_i32 s33, s27, s28
	s_add_nc_u64 s[30:31], s[34:35], s[30:31]
	s_mul_hi_u32 s2, s27, s28
	s_mul_hi_u32 s36, s27, s29
	s_mul_i32 s28, s27, s29
	s_add_co_u32 s29, s30, s33
	s_add_co_ci_u32 s34, s31, s2
	s_add_co_ci_u32 s29, s36, 0
	s_delay_alu instid0(SALU_CYCLE_1) | instskip(NEXT) | instid1(SALU_CYCLE_1)
	s_add_nc_u64 s[28:29], s[34:35], s[28:29]
	s_add_co_u32 s2, s26, s28
	s_cselect_b32 s26, -1, 0
	v_nop
	v_mul_hi_u32 v12, v2, s2
	s_cmp_lg_u32 s26, 0
	s_add_co_ci_u32 s34, s27, s29
	s_mov_b64 s[26:27], 0xffffffff
	v_mul_u64_e32 v[4:5], s[34:35], v[4:5]
	s_and_b64 s[26:27], s[2:3], s[26:27]
	s_delay_alu instid0(SALU_CYCLE_1) | instskip(SKIP_1) | instid1(VALU_DEP_3)
	v_mul_u64_e32 v[10:11], s[26:27], v[8:9]
	v_mul_u64_e32 v[8:9], s[34:35], v[8:9]
	v_add_nc_u64_e32 v[4:5], v[12:13], v[4:5]
	s_delay_alu instid0(VALU_DEP_1) | instskip(NEXT) | instid1(VALU_DEP_2)
	v_add_co_u32 v4, vcc_lo, v4, v10
	v_add_co_ci_u32_e32 v6, vcc_lo, v5, v11, vcc_lo
	s_delay_alu instid0(VALU_DEP_4) | instskip(NEXT) | instid1(VALU_DEP_1)
	v_add_co_ci_u32_e32 v9, vcc_lo, 0, v9, vcc_lo
	v_add_nc_u64_e32 v[4:5], v[6:7], v[8:9]
	s_delay_alu instid0(VALU_DEP_1) | instskip(NEXT) | instid1(VALU_DEP_1)
	v_mul_u64_e32 v[6:7], s[20:21], v[4:5]
	v_sub_nc_u32_e32 v8, v3, v7
	s_delay_alu instid0(VALU_DEP_2) | instskip(NEXT) | instid1(VALU_DEP_1)
	v_sub_co_u32 v2, vcc_lo, v2, v6
	v_sub_co_ci_u32_e64 v7, null, v3, v7, vcc_lo
	s_delay_alu instid0(VALU_DEP_3) | instskip(NEXT) | instid1(VALU_DEP_3)
	v_subrev_co_ci_u32_e64 v6, null, s21, v8, vcc_lo
	v_sub_co_u32 v10, s2, v2, s20
	v_cmp_le_u32_e32 vcc_lo, s20, v2
	s_delay_alu instid0(VALU_DEP_3) | instskip(NEXT) | instid1(VALU_DEP_3)
	v_subrev_co_ci_u32_e64 v6, null, 0, v6, s2
	v_cmp_le_u32_e64 s2, s20, v10
	v_add_nc_u64_e32 v[8:9], 2, v[4:5]
	v_cndmask_b32_e64 v12, 0, -1, vcc_lo
	s_delay_alu instid0(VALU_DEP_4) | instskip(SKIP_3) | instid1(VALU_DEP_1)
	v_cmp_eq_u32_e32 vcc_lo, s21, v6
	v_add_nc_u64_e32 v[2:3], 1, v[4:5]
	v_cndmask_b32_e64 v10, 0, -1, s2
	v_cmp_le_u32_e64 s2, s21, v6
	v_cndmask_b32_e64 v11, 0, -1, s2
	v_cmp_eq_u32_e64 s2, s21, v7
	s_delay_alu instid0(VALU_DEP_2) | instskip(SKIP_2) | instid1(VALU_DEP_3)
	v_cndmask_b32_e32 v6, v11, v10, vcc_lo
	v_cmp_le_u32_e32 vcc_lo, s21, v7
	v_cndmask_b32_e64 v10, 0, -1, vcc_lo
	v_cmp_ne_u32_e32 vcc_lo, 0, v6
	s_delay_alu instid0(VALU_DEP_2) | instskip(SKIP_1) | instid1(VALU_DEP_2)
	v_cndmask_b32_e64 v6, v10, v12, s2
	v_dual_cndmask_b32 v2, v2, v8 :: v_dual_cndmask_b32 v3, v3, v9
	v_cmp_ne_u32_e32 vcc_lo, 0, v6
	s_delay_alu instid0(VALU_DEP_2)
	v_dual_cndmask_b32 v4, v4, v2 :: v_dual_cndmask_b32 v5, v5, v3
                                        ; implicit-def: $vgpr2_vgpr3
.LBB10_7:
	s_and_not1_saveexec_b32 s2, s3
	s_cbranch_execz .LBB10_9
; %bb.8:
	v_cvt_f32_u32_e32 v3, s20
	s_sub_co_i32 s3, 0, s20
	s_delay_alu instid0(VALU_DEP_1) | instskip(SKIP_1) | instid1(TRANS32_DEP_1)
	v_rcp_iflag_f32_e32 v3, v3
	v_nop
	v_mul_f32_e32 v3, 0x4f7ffffe, v3
	s_delay_alu instid0(VALU_DEP_1) | instskip(NEXT) | instid1(VALU_DEP_1)
	v_cvt_u32_f32_e32 v3, v3
	v_mul_lo_u32 v4, s3, v3
	s_delay_alu instid0(VALU_DEP_1) | instskip(NEXT) | instid1(VALU_DEP_1)
	v_mul_hi_u32 v4, v3, v4
	v_add_nc_u32_e32 v3, v3, v4
	s_delay_alu instid0(VALU_DEP_1) | instskip(NEXT) | instid1(VALU_DEP_1)
	v_mul_hi_u32 v3, v2, v3
	v_mul_lo_u32 v4, v3, s20
	s_delay_alu instid0(VALU_DEP_1) | instskip(NEXT) | instid1(VALU_DEP_1)
	v_dual_sub_nc_u32 v2, v2, v4 :: v_dual_add_nc_u32 v4, 1, v3
	v_subrev_nc_u32_e32 v5, s20, v2
	v_cmp_le_u32_e32 vcc_lo, s20, v2
	s_delay_alu instid0(VALU_DEP_2) | instskip(NEXT) | instid1(VALU_DEP_4)
	v_dual_cndmask_b32 v2, v2, v5 :: v_dual_mov_b32 v5, 0
	v_cndmask_b32_e32 v3, v3, v4, vcc_lo
	s_delay_alu instid0(VALU_DEP_2) | instskip(NEXT) | instid1(VALU_DEP_2)
	v_cmp_le_u32_e32 vcc_lo, s20, v2
	v_add_nc_u32_e32 v4, 1, v3
	s_delay_alu instid0(VALU_DEP_1)
	v_cndmask_b32_e32 v4, v3, v4, vcc_lo
.LBB10_9:
	s_or_b32 exec_lo, exec_lo, s2
	s_delay_alu instid0(VALU_DEP_1) | instskip(SKIP_1) | instid1(VALU_DEP_1)
	v_dual_mov_b32 v6, 0 :: v_dual_bitop2_b32 v7, s17, v5 bitop3:0x54
                                        ; implicit-def: $vgpr2_vgpr3
	s_mov_b32 s2, exec_lo
	v_cmpx_ne_u64_e32 0, v[6:7]
	s_xor_b32 s3, exec_lo, s2
	s_cbranch_execz .LBB10_11
; %bb.10:
	s_cvt_f32_u32 s2, s16
	s_cvt_f32_u32 s26, s17
	s_sub_nc_u64 s[28:29], 0, s[16:17]
	s_mov_b32 s35, 0
	v_dual_mov_b32 v2, v4 :: v_dual_mov_b32 v3, v6
	s_fmamk_f32 s2, s26, 0x4f800000, s2
	v_dual_mov_b32 v8, v5 :: v_dual_mov_b32 v9, v6
	v_dual_mov_b32 v13, v6 :: v_dual_mov_b32 v7, v6
	s_delay_alu instid0(SALU_CYCLE_1) | instskip(NEXT) | instid1(TRANS32_DEP_1)
	v_s_rcp_f32 s2, s2
	s_mul_f32 s2, s2, 0x5f7ffffc
	s_delay_alu instid0(SALU_CYCLE_3) | instskip(NEXT) | instid1(SALU_CYCLE_3)
	s_mul_f32 s26, s2, 0x2f800000
	s_trunc_f32 s26, s26
	s_delay_alu instid0(SALU_CYCLE_3) | instskip(SKIP_1) | instid1(SALU_CYCLE_2)
	s_fmamk_f32 s2, s26, 0xcf800000, s2
	s_cvt_u32_f32 s27, s26
	s_cvt_u32_f32 s26, s2
	s_delay_alu instid0(SALU_CYCLE_3) | instskip(NEXT) | instid1(SALU_CYCLE_1)
	s_mul_u64 s[30:31], s[28:29], s[26:27]
	s_mul_hi_u32 s37, s26, s31
	s_mul_i32 s36, s26, s31
	s_mul_hi_u32 s34, s26, s30
	s_mul_i32 s33, s27, s30
	s_add_nc_u64 s[36:37], s[34:35], s[36:37]
	s_mul_hi_u32 s2, s27, s30
	s_mul_hi_u32 s38, s27, s31
	s_mul_i32 s30, s27, s31
	s_add_co_u32 s31, s36, s33
	s_add_co_ci_u32 s34, s37, s2
	s_add_co_ci_u32 s31, s38, 0
	s_delay_alu instid0(SALU_CYCLE_1) | instskip(NEXT) | instid1(SALU_CYCLE_1)
	s_add_nc_u64 s[30:31], s[34:35], s[30:31]
	s_add_co_u32 s26, s26, s30
	s_cselect_b32 s2, -1, 0
	s_delay_alu instid0(SALU_CYCLE_1) | instskip(SKIP_1) | instid1(SALU_CYCLE_1)
	s_cmp_lg_u32 s2, 0
	s_add_co_ci_u32 s27, s27, s31
	s_mul_u64 s[28:29], s[28:29], s[26:27]
	s_delay_alu instid0(SALU_CYCLE_1)
	s_mul_hi_u32 s31, s26, s29
	s_mul_i32 s30, s26, s29
	s_mul_hi_u32 s34, s26, s28
	s_mul_i32 s33, s27, s28
	s_add_nc_u64 s[30:31], s[34:35], s[30:31]
	s_mul_hi_u32 s2, s27, s28
	s_mul_hi_u32 s36, s27, s29
	s_mul_i32 s28, s27, s29
	s_add_co_u32 s29, s30, s33
	s_add_co_ci_u32 s34, s31, s2
	s_add_co_ci_u32 s29, s36, 0
	s_delay_alu instid0(SALU_CYCLE_1) | instskip(NEXT) | instid1(SALU_CYCLE_1)
	s_add_nc_u64 s[28:29], s[34:35], s[28:29]
	s_add_co_u32 s2, s26, s28
	s_cselect_b32 s26, -1, 0
	v_nop
	v_mul_hi_u32 v12, v4, s2
	s_cmp_lg_u32 s26, 0
	s_add_co_ci_u32 s34, s27, s29
	s_mov_b64 s[26:27], 0xffffffff
	v_mul_u64_e32 v[2:3], s[34:35], v[2:3]
	s_and_b64 s[26:27], s[2:3], s[26:27]
	s_delay_alu instid0(SALU_CYCLE_1) | instskip(SKIP_1) | instid1(VALU_DEP_3)
	v_mul_u64_e32 v[10:11], s[26:27], v[8:9]
	v_mul_u64_e32 v[8:9], s[34:35], v[8:9]
	v_add_nc_u64_e32 v[2:3], v[12:13], v[2:3]
	s_delay_alu instid0(VALU_DEP_1) | instskip(NEXT) | instid1(VALU_DEP_2)
	v_add_co_u32 v2, vcc_lo, v2, v10
	v_add_co_ci_u32_e32 v6, vcc_lo, v3, v11, vcc_lo
	s_delay_alu instid0(VALU_DEP_4) | instskip(NEXT) | instid1(VALU_DEP_1)
	v_add_co_ci_u32_e32 v9, vcc_lo, 0, v9, vcc_lo
	v_add_nc_u64_e32 v[2:3], v[6:7], v[8:9]
	s_delay_alu instid0(VALU_DEP_1) | instskip(NEXT) | instid1(VALU_DEP_1)
	v_mul_u64_e32 v[2:3], s[16:17], v[2:3]
	v_sub_nc_u32_e32 v6, v5, v3
	s_delay_alu instid0(VALU_DEP_2) | instskip(NEXT) | instid1(VALU_DEP_1)
	v_sub_co_u32 v2, vcc_lo, v4, v2
	v_sub_co_ci_u32_e64 v3, null, v5, v3, vcc_lo
	s_delay_alu instid0(VALU_DEP_3) | instskip(NEXT) | instid1(VALU_DEP_3)
	v_subrev_co_ci_u32_e64 v4, null, s17, v6, vcc_lo
	v_sub_co_u32 v5, vcc_lo, v2, s16
	v_cmp_le_u32_e64 s2, s16, v2
	s_delay_alu instid0(VALU_DEP_3) | instskip(SKIP_1) | instid1(VALU_DEP_3)
	v_subrev_co_ci_u32_e64 v6, null, 0, v4, vcc_lo
	v_subrev_co_ci_u32_e64 v4, null, s17, v4, vcc_lo
	v_cndmask_b32_e64 v7, 0, -1, s2
	v_cmp_le_u32_e64 s2, s16, v5
	v_cmp_le_u32_e32 vcc_lo, s17, v3
	s_delay_alu instid0(VALU_DEP_2) | instskip(SKIP_3) | instid1(VALU_DEP_3)
	v_cndmask_b32_e64 v8, 0, -1, s2
	v_cmp_le_u32_e64 s2, s17, v6
	v_cndmask_b32_e64 v10, 0, -1, vcc_lo
	v_cmp_eq_u32_e32 vcc_lo, s17, v6
	v_cndmask_b32_e64 v9, 0, -1, s2
	s_delay_alu instid0(VALU_DEP_1) | instskip(SKIP_1) | instid1(VALU_DEP_1)
	v_cndmask_b32_e32 v6, v9, v8, vcc_lo
	v_sub_co_u32 v8, vcc_lo, v5, s16
	v_subrev_co_ci_u32_e64 v4, null, 0, v4, vcc_lo
	v_cmp_eq_u32_e32 vcc_lo, s17, v3
	v_cndmask_b32_e32 v3, v10, v7, vcc_lo
	v_cmp_ne_u32_e32 vcc_lo, 0, v6
	v_cndmask_b32_e32 v4, v5, v8, vcc_lo
	s_delay_alu instid0(VALU_DEP_3) | instskip(NEXT) | instid1(VALU_DEP_2)
	v_cmp_ne_u32_e32 vcc_lo, 0, v3
	v_cndmask_b32_e32 v2, v2, v4, vcc_lo
                                        ; implicit-def: $vgpr4_vgpr5
.LBB10_11:
	s_and_not1_saveexec_b32 s2, s3
	s_cbranch_execz .LBB10_13
; %bb.12:
	v_cvt_f32_u32_e32 v2, s16
	s_sub_co_i32 s3, 0, s16
	s_delay_alu instid0(VALU_DEP_1) | instskip(SKIP_1) | instid1(TRANS32_DEP_1)
	v_rcp_iflag_f32_e32 v2, v2
	v_nop
	v_mul_f32_e32 v2, 0x4f7ffffe, v2
	s_delay_alu instid0(VALU_DEP_1) | instskip(NEXT) | instid1(VALU_DEP_1)
	v_cvt_u32_f32_e32 v2, v2
	v_mul_lo_u32 v3, s3, v2
	s_delay_alu instid0(VALU_DEP_1) | instskip(NEXT) | instid1(VALU_DEP_1)
	v_mul_hi_u32 v3, v2, v3
	v_add_nc_u32_e32 v2, v2, v3
	s_delay_alu instid0(VALU_DEP_1) | instskip(NEXT) | instid1(VALU_DEP_1)
	v_mul_hi_u32 v2, v4, v2
	v_mul_lo_u32 v2, v2, s16
	s_delay_alu instid0(VALU_DEP_1) | instskip(NEXT) | instid1(VALU_DEP_1)
	v_sub_nc_u32_e32 v2, v4, v2
	v_subrev_nc_u32_e32 v3, s16, v2
	v_cmp_le_u32_e32 vcc_lo, s16, v2
	s_delay_alu instid0(VALU_DEP_2) | instskip(NEXT) | instid1(VALU_DEP_1)
	v_cndmask_b32_e32 v2, v2, v3, vcc_lo
	v_subrev_nc_u32_e32 v3, s16, v2
	v_cmp_le_u32_e32 vcc_lo, s16, v2
	s_delay_alu instid0(VALU_DEP_2)
	v_cndmask_b32_e32 v2, v2, v3, vcc_lo
.LBB10_13:
	s_or_b32 exec_lo, exec_lo, s2
	v_dual_mov_b32 v6, 0 :: v_dual_bitop2_b32 v7, s21, v1 bitop3:0x54
                                        ; implicit-def: $vgpr4_vgpr5
	s_mov_b32 s2, exec_lo
	s_delay_alu instid0(VALU_DEP_1)
	v_cmpx_ne_u64_e32 0, v[6:7]
	s_xor_b32 s3, exec_lo, s2
	s_cbranch_execz .LBB10_15
; %bb.14:
	s_cvt_f32_u32 s2, s20
	s_cvt_f32_u32 s16, s21
	s_sub_nc_u64 s[26:27], 0, s[20:21]
	s_mov_b32 s31, 0
	v_dual_mov_b32 v4, v0 :: v_dual_mov_b32 v5, v6
	s_fmamk_f32 s2, s16, 0x4f800000, s2
	v_dual_mov_b32 v8, v1 :: v_dual_mov_b32 v9, v6
	v_dual_mov_b32 v13, v6 :: v_dual_mov_b32 v7, v6
	s_delay_alu instid0(SALU_CYCLE_1) | instskip(NEXT) | instid1(TRANS32_DEP_1)
	v_s_rcp_f32 s2, s2
	s_mul_f32 s2, s2, 0x5f7ffffc
	s_delay_alu instid0(SALU_CYCLE_3) | instskip(NEXT) | instid1(SALU_CYCLE_3)
	s_mul_f32 s16, s2, 0x2f800000
	s_trunc_f32 s16, s16
	s_delay_alu instid0(SALU_CYCLE_3) | instskip(SKIP_1) | instid1(SALU_CYCLE_2)
	s_fmamk_f32 s2, s16, 0xcf800000, s2
	s_cvt_u32_f32 s17, s16
	s_cvt_u32_f32 s16, s2
	s_delay_alu instid0(SALU_CYCLE_3) | instskip(NEXT) | instid1(SALU_CYCLE_1)
	s_mul_u64 s[28:29], s[26:27], s[16:17]
	s_mul_hi_u32 s35, s16, s29
	s_mul_i32 s34, s16, s29
	s_mul_hi_u32 s30, s16, s28
	s_mul_i32 s33, s17, s28
	s_add_nc_u64 s[34:35], s[30:31], s[34:35]
	s_mul_hi_u32 s2, s17, s28
	s_mul_hi_u32 s36, s17, s29
	s_mul_i32 s28, s17, s29
	s_add_co_u32 s29, s34, s33
	s_add_co_ci_u32 s30, s35, s2
	s_add_co_ci_u32 s29, s36, 0
	s_delay_alu instid0(SALU_CYCLE_1) | instskip(NEXT) | instid1(SALU_CYCLE_1)
	s_add_nc_u64 s[28:29], s[30:31], s[28:29]
	s_add_co_u32 s16, s16, s28
	s_cselect_b32 s2, -1, 0
	s_delay_alu instid0(SALU_CYCLE_1) | instskip(SKIP_1) | instid1(SALU_CYCLE_1)
	s_cmp_lg_u32 s2, 0
	s_add_co_ci_u32 s17, s17, s29
	s_mul_u64 s[26:27], s[26:27], s[16:17]
	s_delay_alu instid0(SALU_CYCLE_1)
	s_mul_hi_u32 s29, s16, s27
	s_mul_i32 s28, s16, s27
	s_mul_hi_u32 s30, s16, s26
	s_mul_i32 s33, s17, s26
	s_add_nc_u64 s[28:29], s[30:31], s[28:29]
	s_mul_hi_u32 s2, s17, s26
	s_mul_hi_u32 s34, s17, s27
	s_mul_i32 s26, s17, s27
	s_add_co_u32 s27, s28, s33
	s_add_co_ci_u32 s30, s29, s2
	s_add_co_ci_u32 s27, s34, 0
	s_delay_alu instid0(SALU_CYCLE_1) | instskip(NEXT) | instid1(SALU_CYCLE_1)
	s_add_nc_u64 s[26:27], s[30:31], s[26:27]
	s_add_co_u32 s2, s16, s26
	s_cselect_b32 s16, -1, 0
	v_nop
	v_mul_hi_u32 v12, v0, s2
	s_cmp_lg_u32 s16, 0
	s_add_co_ci_u32 s30, s17, s27
	s_mov_b64 s[16:17], 0xffffffff
	v_mul_u64_e32 v[4:5], s[30:31], v[4:5]
	s_and_b64 s[16:17], s[2:3], s[16:17]
	s_delay_alu instid0(SALU_CYCLE_1) | instskip(SKIP_1) | instid1(VALU_DEP_3)
	v_mul_u64_e32 v[10:11], s[16:17], v[8:9]
	v_mul_u64_e32 v[8:9], s[30:31], v[8:9]
	v_add_nc_u64_e32 v[4:5], v[12:13], v[4:5]
	s_delay_alu instid0(VALU_DEP_1) | instskip(NEXT) | instid1(VALU_DEP_2)
	v_add_co_u32 v3, vcc_lo, v4, v10
	v_add_co_ci_u32_e32 v6, vcc_lo, v5, v11, vcc_lo
	s_delay_alu instid0(VALU_DEP_4) | instskip(NEXT) | instid1(VALU_DEP_1)
	v_add_co_ci_u32_e32 v9, vcc_lo, 0, v9, vcc_lo
	v_add_nc_u64_e32 v[4:5], v[6:7], v[8:9]
	s_delay_alu instid0(VALU_DEP_1) | instskip(SKIP_1) | instid1(VALU_DEP_2)
	v_mul_u64_e32 v[6:7], s[20:21], v[4:5]
	v_add_nc_u64_e32 v[8:9], 2, v[4:5]
	v_sub_nc_u32_e32 v3, v1, v7
	s_delay_alu instid0(VALU_DEP_3) | instskip(NEXT) | instid1(VALU_DEP_1)
	v_sub_co_u32 v6, vcc_lo, v0, v6
	v_sub_co_ci_u32_e64 v12, null, v1, v7, vcc_lo
	s_delay_alu instid0(VALU_DEP_3) | instskip(NEXT) | instid1(VALU_DEP_3)
	v_subrev_co_ci_u32_e64 v3, null, s21, v3, vcc_lo
	v_sub_co_u32 v10, s2, v6, s20
	v_cmp_le_u32_e32 vcc_lo, s20, v6
	s_delay_alu instid0(VALU_DEP_3) | instskip(NEXT) | instid1(VALU_DEP_3)
	v_subrev_co_ci_u32_e64 v3, null, 0, v3, s2
	v_cmp_le_u32_e64 s2, s20, v10
	v_add_nc_u64_e32 v[6:7], 1, v[4:5]
	v_cndmask_b32_e64 v13, 0, -1, vcc_lo
	s_delay_alu instid0(VALU_DEP_4) | instskip(NEXT) | instid1(VALU_DEP_4)
	v_cmp_eq_u32_e32 vcc_lo, s21, v3
	v_cndmask_b32_e64 v10, 0, -1, s2
	v_cmp_le_u32_e64 s2, s21, v3
	s_delay_alu instid0(VALU_DEP_1) | instskip(SKIP_1) | instid1(VALU_DEP_2)
	v_cndmask_b32_e64 v11, 0, -1, s2
	v_cmp_eq_u32_e64 s2, s21, v12
	v_cndmask_b32_e32 v3, v11, v10, vcc_lo
	v_cmp_le_u32_e32 vcc_lo, s21, v12
	v_cndmask_b32_e64 v10, 0, -1, vcc_lo
	s_delay_alu instid0(VALU_DEP_3) | instskip(SKIP_1) | instid1(VALU_DEP_3)
	v_cmp_ne_u32_e32 vcc_lo, 0, v3
	v_cndmask_b32_e32 v7, v7, v9, vcc_lo
	v_cndmask_b32_e64 v3, v10, v13, s2
	v_cndmask_b32_e32 v6, v6, v8, vcc_lo
	s_delay_alu instid0(VALU_DEP_2) | instskip(NEXT) | instid1(VALU_DEP_2)
	v_cmp_ne_u32_e32 vcc_lo, 0, v3
	v_dual_cndmask_b32 v5, v5, v7 :: v_dual_cndmask_b32 v4, v4, v6
.LBB10_15:
	s_and_not1_saveexec_b32 s2, s3
	s_cbranch_execz .LBB10_17
; %bb.16:
	v_cvt_f32_u32_e32 v3, s20
	s_sub_co_i32 s3, 0, s20
	s_delay_alu instid0(VALU_DEP_1) | instskip(SKIP_1) | instid1(TRANS32_DEP_1)
	v_rcp_iflag_f32_e32 v3, v3
	v_nop
	v_mul_f32_e32 v3, 0x4f7ffffe, v3
	s_delay_alu instid0(VALU_DEP_1) | instskip(NEXT) | instid1(VALU_DEP_1)
	v_cvt_u32_f32_e32 v3, v3
	v_mul_lo_u32 v4, s3, v3
	s_delay_alu instid0(VALU_DEP_1) | instskip(NEXT) | instid1(VALU_DEP_1)
	v_mul_hi_u32 v4, v3, v4
	v_add_nc_u32_e32 v3, v3, v4
	s_delay_alu instid0(VALU_DEP_1) | instskip(NEXT) | instid1(VALU_DEP_1)
	v_mul_hi_u32 v3, v0, v3
	v_mul_lo_u32 v4, v3, s20
	s_delay_alu instid0(VALU_DEP_1) | instskip(NEXT) | instid1(VALU_DEP_1)
	v_dual_add_nc_u32 v5, 1, v3 :: v_dual_sub_nc_u32 v4, v0, v4
	v_subrev_nc_u32_e32 v6, s20, v4
	v_cmp_le_u32_e32 vcc_lo, s20, v4
	s_delay_alu instid0(VALU_DEP_2) | instskip(NEXT) | instid1(VALU_DEP_1)
	v_dual_cndmask_b32 v4, v4, v6 :: v_dual_cndmask_b32 v3, v3, v5
	v_cmp_le_u32_e32 vcc_lo, s20, v4
	s_delay_alu instid0(VALU_DEP_2) | instskip(NEXT) | instid1(VALU_DEP_1)
	v_add_nc_u32_e32 v5, 1, v3
	v_dual_cndmask_b32 v4, v3, v5 :: v_dual_mov_b32 v5, 0
.LBB10_17:
	s_or_b32 exec_lo, exec_lo, s2
	s_delay_alu instid0(VALU_DEP_1) | instskip(SKIP_1) | instid1(VALU_DEP_1)
	v_dual_mov_b32 v8, 0 :: v_dual_bitop2_b32 v9, s19, v5 bitop3:0x54
                                        ; implicit-def: $vgpr6_vgpr7
	s_mov_b32 s2, exec_lo
	v_cmpx_ne_u64_e32 0, v[8:9]
	s_xor_b32 s3, exec_lo, s2
	s_cbranch_execnz .LBB10_20
; %bb.18:
	s_and_not1_saveexec_b32 s2, s3
	s_cbranch_execnz .LBB10_21
.LBB10_19:
	s_or_b32 exec_lo, exec_lo, s2
	s_cmp_eq_u64 s[6:7], 0
	s_cbranch_scc0 .LBB10_22
	s_branch .LBB10_44
.LBB10_20:
	s_cvt_f32_u32 s2, s18
	s_cvt_f32_u32 s16, s19
	s_sub_nc_u64 s[26:27], 0, s[18:19]
	s_mov_b32 s31, 0
	v_dual_mov_b32 v6, v4 :: v_dual_mov_b32 v7, v8
	s_fmamk_f32 s2, s16, 0x4f800000, s2
	v_dual_mov_b32 v10, v5 :: v_dual_mov_b32 v11, v8
	v_dual_mov_b32 v15, v8 :: v_dual_mov_b32 v9, v8
	s_delay_alu instid0(SALU_CYCLE_1) | instskip(NEXT) | instid1(TRANS32_DEP_1)
	v_s_rcp_f32 s2, s2
	s_mul_f32 s2, s2, 0x5f7ffffc
	s_delay_alu instid0(SALU_CYCLE_3) | instskip(NEXT) | instid1(SALU_CYCLE_3)
	s_mul_f32 s16, s2, 0x2f800000
	s_trunc_f32 s16, s16
	s_delay_alu instid0(SALU_CYCLE_3) | instskip(SKIP_1) | instid1(SALU_CYCLE_2)
	s_fmamk_f32 s2, s16, 0xcf800000, s2
	s_cvt_u32_f32 s17, s16
	s_cvt_u32_f32 s16, s2
	s_delay_alu instid0(SALU_CYCLE_3) | instskip(NEXT) | instid1(SALU_CYCLE_1)
	s_mul_u64 s[28:29], s[26:27], s[16:17]
	s_mul_hi_u32 s35, s16, s29
	s_mul_i32 s34, s16, s29
	s_mul_hi_u32 s30, s16, s28
	s_mul_i32 s33, s17, s28
	s_add_nc_u64 s[34:35], s[30:31], s[34:35]
	s_mul_hi_u32 s2, s17, s28
	s_mul_hi_u32 s36, s17, s29
	s_mul_i32 s28, s17, s29
	s_add_co_u32 s29, s34, s33
	s_add_co_ci_u32 s30, s35, s2
	s_add_co_ci_u32 s29, s36, 0
	s_delay_alu instid0(SALU_CYCLE_1) | instskip(NEXT) | instid1(SALU_CYCLE_1)
	s_add_nc_u64 s[28:29], s[30:31], s[28:29]
	s_add_co_u32 s16, s16, s28
	s_cselect_b32 s2, -1, 0
	s_delay_alu instid0(SALU_CYCLE_1) | instskip(SKIP_1) | instid1(SALU_CYCLE_1)
	s_cmp_lg_u32 s2, 0
	s_add_co_ci_u32 s17, s17, s29
	s_mul_u64 s[26:27], s[26:27], s[16:17]
	s_delay_alu instid0(SALU_CYCLE_1)
	s_mul_hi_u32 s29, s16, s27
	s_mul_i32 s28, s16, s27
	s_mul_hi_u32 s30, s16, s26
	s_mul_i32 s33, s17, s26
	s_add_nc_u64 s[28:29], s[30:31], s[28:29]
	s_mul_hi_u32 s2, s17, s26
	s_mul_hi_u32 s34, s17, s27
	s_mul_i32 s26, s17, s27
	s_add_co_u32 s27, s28, s33
	s_add_co_ci_u32 s30, s29, s2
	s_add_co_ci_u32 s27, s34, 0
	s_delay_alu instid0(SALU_CYCLE_1) | instskip(NEXT) | instid1(SALU_CYCLE_1)
	s_add_nc_u64 s[26:27], s[30:31], s[26:27]
	s_add_co_u32 s2, s16, s26
	s_cselect_b32 s16, -1, 0
	v_nop
	v_mul_hi_u32 v14, v4, s2
	s_cmp_lg_u32 s16, 0
	s_add_co_ci_u32 s30, s17, s27
	s_mov_b64 s[16:17], 0xffffffff
	v_mul_u64_e32 v[6:7], s[30:31], v[6:7]
	s_and_b64 s[16:17], s[2:3], s[16:17]
	s_delay_alu instid0(SALU_CYCLE_1) | instskip(SKIP_1) | instid1(VALU_DEP_3)
	v_mul_u64_e32 v[12:13], s[16:17], v[10:11]
	v_mul_u64_e32 v[10:11], s[30:31], v[10:11]
	v_add_nc_u64_e32 v[6:7], v[14:15], v[6:7]
	s_delay_alu instid0(VALU_DEP_1) | instskip(NEXT) | instid1(VALU_DEP_2)
	v_add_co_u32 v3, vcc_lo, v6, v12
	v_add_co_ci_u32_e32 v8, vcc_lo, v7, v13, vcc_lo
	s_delay_alu instid0(VALU_DEP_4) | instskip(NEXT) | instid1(VALU_DEP_1)
	v_add_co_ci_u32_e32 v11, vcc_lo, 0, v11, vcc_lo
	v_add_nc_u64_e32 v[6:7], v[8:9], v[10:11]
	s_delay_alu instid0(VALU_DEP_1) | instskip(NEXT) | instid1(VALU_DEP_1)
	v_mul_u64_e32 v[6:7], s[18:19], v[6:7]
	v_sub_nc_u32_e32 v3, v5, v7
	s_delay_alu instid0(VALU_DEP_2) | instskip(NEXT) | instid1(VALU_DEP_1)
	v_sub_co_u32 v6, vcc_lo, v4, v6
	v_sub_co_ci_u32_e64 v5, null, v5, v7, vcc_lo
	s_delay_alu instid0(VALU_DEP_3) | instskip(NEXT) | instid1(VALU_DEP_3)
	v_subrev_co_ci_u32_e64 v3, null, s19, v3, vcc_lo
	v_sub_co_u32 v7, vcc_lo, v6, s18
	v_cmp_le_u32_e64 s2, s18, v6
	s_delay_alu instid0(VALU_DEP_3) | instskip(SKIP_1) | instid1(VALU_DEP_3)
	v_subrev_co_ci_u32_e64 v8, null, 0, v3, vcc_lo
	v_subrev_co_ci_u32_e64 v3, null, s19, v3, vcc_lo
	v_cndmask_b32_e64 v9, 0, -1, s2
	v_cmp_le_u32_e64 s2, s18, v7
	v_cmp_le_u32_e32 vcc_lo, s19, v5
	s_delay_alu instid0(VALU_DEP_2) | instskip(SKIP_3) | instid1(VALU_DEP_3)
	v_cndmask_b32_e64 v10, 0, -1, s2
	v_cmp_le_u32_e64 s2, s19, v8
	v_cndmask_b32_e64 v12, 0, -1, vcc_lo
	v_cmp_eq_u32_e32 vcc_lo, s19, v8
	v_cndmask_b32_e64 v11, 0, -1, s2
	s_delay_alu instid0(VALU_DEP_1) | instskip(SKIP_1) | instid1(VALU_DEP_1)
	v_cndmask_b32_e32 v8, v11, v10, vcc_lo
	v_sub_co_u32 v10, vcc_lo, v7, s18
	v_subrev_co_ci_u32_e64 v3, null, 0, v3, vcc_lo
	v_cmp_eq_u32_e32 vcc_lo, s19, v5
	v_cndmask_b32_e32 v3, v12, v9, vcc_lo
	v_cmp_ne_u32_e32 vcc_lo, 0, v8
	v_cndmask_b32_e32 v5, v7, v10, vcc_lo
	s_delay_alu instid0(VALU_DEP_3) | instskip(NEXT) | instid1(VALU_DEP_2)
	v_cmp_ne_u32_e32 vcc_lo, 0, v3
	v_cndmask_b32_e32 v6, v6, v5, vcc_lo
	s_and_not1_saveexec_b32 s2, s3
	s_cbranch_execz .LBB10_19
.LBB10_21:
	v_cvt_f32_u32_e32 v3, s18
	s_sub_co_i32 s3, 0, s18
	s_delay_alu instid0(VALU_DEP_1) | instskip(SKIP_1) | instid1(TRANS32_DEP_1)
	v_rcp_iflag_f32_e32 v3, v3
	v_nop
	v_mul_f32_e32 v3, 0x4f7ffffe, v3
	s_delay_alu instid0(VALU_DEP_1) | instskip(NEXT) | instid1(VALU_DEP_1)
	v_cvt_u32_f32_e32 v3, v3
	v_mul_lo_u32 v5, s3, v3
	s_delay_alu instid0(VALU_DEP_1) | instskip(NEXT) | instid1(VALU_DEP_1)
	v_mul_hi_u32 v5, v3, v5
	v_add_nc_u32_e32 v3, v3, v5
	s_delay_alu instid0(VALU_DEP_1) | instskip(NEXT) | instid1(VALU_DEP_1)
	v_mul_hi_u32 v3, v4, v3
	v_mul_lo_u32 v3, v3, s18
	s_delay_alu instid0(VALU_DEP_1) | instskip(NEXT) | instid1(VALU_DEP_1)
	v_sub_nc_u32_e32 v3, v4, v3
	v_subrev_nc_u32_e32 v5, s18, v3
	v_cmp_le_u32_e32 vcc_lo, s18, v3
	s_delay_alu instid0(VALU_DEP_2) | instskip(NEXT) | instid1(VALU_DEP_1)
	v_cndmask_b32_e32 v3, v3, v5, vcc_lo
	v_subrev_nc_u32_e32 v5, s18, v3
	v_cmp_le_u32_e32 vcc_lo, s18, v3
	s_delay_alu instid0(VALU_DEP_2)
	v_cndmask_b32_e32 v6, v3, v5, vcc_lo
	s_or_b32 exec_lo, exec_lo, s2
	s_cmp_eq_u64 s[6:7], 0
	s_cbranch_scc1 .LBB10_44
.LBB10_22:
	s_mul_u64 s[16:17], s[24:25], s[20:21]
                                        ; implicit-def: $vgpr10_vgpr11
	s_mov_b32 s2, exec_lo
	v_dual_mov_b32 v8, 0 :: v_dual_bitop2_b32 v9, s17, v1 bitop3:0x54
	s_delay_alu instid0(VALU_DEP_1)
	v_cmpx_ne_u64_e32 0, v[8:9]
	s_xor_b32 s3, exec_lo, s2
	s_cbranch_execz .LBB10_24
; %bb.23:
	s_ashr_i32 s18, s17, 31
	s_mov_b32 s35, 0
	s_mov_b32 s19, s18
	v_dual_mov_b32 v15, v8 :: v_dual_ashrrev_i32 v10, 31, v1
	s_add_nc_u64 s[24:25], s[16:17], s[18:19]
	v_dual_mov_b32 v23, v8 :: v_dual_mov_b32 v9, v8
	s_xor_b64 s[24:25], s[24:25], s[18:19]
	s_delay_alu instid0(VALU_DEP_2) | instskip(SKIP_3) | instid1(VALU_DEP_1)
	v_mov_b32_e32 v11, v10
	s_cvt_f32_u32 s2, s24
	s_cvt_f32_u32 s19, s25
	s_sub_nc_u64 s[28:29], 0, s[24:25]
	v_add_nc_u64_e32 v[12:13], v[0:1], v[10:11]
	s_delay_alu instid0(SALU_CYCLE_1) | instskip(SKIP_1) | instid1(SALU_CYCLE_2)
	s_fmamk_f32 s2, s19, 0x4f800000, s2
	v_mov_b32_e32 v17, v8
	v_s_rcp_f32 s2, s2
	s_delay_alu instid0(VALU_DEP_2) | instskip(NEXT) | instid1(VALU_DEP_3)
	v_xor_b32_e32 v14, v12, v10
	v_xor_b32_e32 v16, v13, v10
	;; [unrolled: 1-line block ×3, first 2 shown]
	s_delay_alu instid0(TRANS32_DEP_1) | instskip(NEXT) | instid1(SALU_CYCLE_3)
	s_mul_f32 s2, s2, 0x5f7ffffc
	s_mul_f32 s19, s2, 0x2f800000
	s_delay_alu instid0(SALU_CYCLE_3) | instskip(NEXT) | instid1(SALU_CYCLE_3)
	s_trunc_f32 s19, s19
	s_fmamk_f32 s2, s19, 0xcf800000, s2
	s_cvt_u32_f32 s27, s19
	s_delay_alu instid0(SALU_CYCLE_2) | instskip(NEXT) | instid1(SALU_CYCLE_3)
	s_cvt_u32_f32 s26, s2
	s_mul_u64 s[30:31], s[28:29], s[26:27]
	s_delay_alu instid0(SALU_CYCLE_1)
	s_mul_hi_u32 s37, s26, s31
	s_mul_i32 s36, s26, s31
	s_mul_hi_u32 s34, s26, s30
	s_mul_i32 s19, s27, s30
	s_add_nc_u64 s[36:37], s[34:35], s[36:37]
	s_mul_hi_u32 s2, s27, s30
	s_mul_hi_u32 s21, s27, s31
	s_add_co_u32 s19, s36, s19
	s_add_co_ci_u32 s34, s37, s2
	s_mul_i32 s30, s27, s31
	s_add_co_ci_u32 s31, s21, 0
	s_delay_alu instid0(SALU_CYCLE_1) | instskip(NEXT) | instid1(SALU_CYCLE_1)
	s_add_nc_u64 s[30:31], s[34:35], s[30:31]
	s_add_co_u32 s26, s26, s30
	s_cselect_b32 s2, -1, 0
	s_delay_alu instid0(SALU_CYCLE_1) | instskip(SKIP_1) | instid1(SALU_CYCLE_1)
	s_cmp_lg_u32 s2, 0
	s_add_co_ci_u32 s27, s27, s31
	s_mul_u64 s[28:29], s[28:29], s[26:27]
	s_delay_alu instid0(SALU_CYCLE_1)
	s_mul_hi_u32 s31, s26, s29
	s_mul_i32 s30, s26, s29
	s_mul_hi_u32 s34, s26, s28
	s_mul_i32 s19, s27, s28
	s_add_nc_u64 s[30:31], s[34:35], s[30:31]
	s_mul_hi_u32 s2, s27, s28
	s_mul_hi_u32 s21, s27, s29
	s_add_co_u32 s19, s30, s19
	s_add_co_ci_u32 s34, s31, s2
	s_mul_i32 s28, s27, s29
	s_add_co_ci_u32 s29, s21, 0
	s_delay_alu instid0(SALU_CYCLE_1) | instskip(NEXT) | instid1(SALU_CYCLE_1)
	s_add_nc_u64 s[28:29], s[34:35], s[28:29]
	s_add_co_u32 s2, s26, s28
	s_cselect_b32 s19, -1, 0
	v_mul_hi_u32 v22, v14, s2
	s_cmp_lg_u32 s19, 0
	s_add_co_ci_u32 s34, s27, s29
	s_mov_b64 s[26:27], 0xffffffff
	v_mul_u64_e32 v[18:19], s[34:35], v[14:15]
	s_and_b64 s[26:27], s[2:3], s[26:27]
	v_mul_u64_e32 v[20:21], s[34:35], v[16:17]
	v_mul_u64_e32 v[12:13], s[26:27], v[16:17]
	s_delay_alu instid0(VALU_DEP_3) | instskip(NEXT) | instid1(VALU_DEP_1)
	v_add_nc_u64_e32 v[18:19], v[22:23], v[18:19]
	v_add_co_u32 v3, vcc_lo, v18, v12
	s_delay_alu instid0(VALU_DEP_2) | instskip(SKIP_1) | instid1(VALU_DEP_1)
	v_add_co_ci_u32_e32 v8, vcc_lo, v19, v13, vcc_lo
	v_add_co_ci_u32_e32 v21, vcc_lo, 0, v21, vcc_lo
	v_add_nc_u64_e32 v[8:9], v[8:9], v[20:21]
	s_delay_alu instid0(VALU_DEP_1) | instskip(NEXT) | instid1(VALU_DEP_1)
	v_mul_u64_e32 v[12:13], s[24:25], v[8:9]
	v_sub_co_u32 v5, vcc_lo, v14, v12
	v_add_nc_u64_e32 v[14:15], 1, v[8:9]
	s_delay_alu instid0(VALU_DEP_3) | instskip(SKIP_1) | instid1(VALU_DEP_4)
	v_sub_nc_u32_e32 v3, v16, v13
	v_sub_co_ci_u32_e64 v11, null, v16, v13, vcc_lo
	v_sub_co_u32 v7, s2, v5, s24
	s_delay_alu instid0(VALU_DEP_3) | instskip(NEXT) | instid1(VALU_DEP_2)
	v_subrev_co_ci_u32_e64 v3, null, s25, v3, vcc_lo
	v_cmp_le_u32_e32 vcc_lo, s24, v7
	s_delay_alu instid0(VALU_DEP_2) | instskip(SKIP_1) | instid1(VALU_DEP_2)
	v_subrev_co_ci_u32_e64 v3, null, 0, v3, s2
	v_cndmask_b32_e64 v7, 0, -1, vcc_lo
	v_cmp_le_u32_e32 vcc_lo, s25, v3
	v_cndmask_b32_e64 v12, 0, -1, vcc_lo
	v_cmp_le_u32_e32 vcc_lo, s24, v5
	v_cndmask_b32_e64 v5, 0, -1, vcc_lo
	v_cmp_le_u32_e32 vcc_lo, s25, v11
	v_cndmask_b32_e64 v16, 0, -1, vcc_lo
	v_cmp_eq_u32_e32 vcc_lo, s25, v3
	v_cndmask_b32_e32 v3, v12, v7, vcc_lo
	v_cmp_eq_u32_e32 vcc_lo, s25, v11
	v_add_nc_u64_e32 v[12:13], 2, v[8:9]
	v_dual_mov_b32 v11, v10 :: v_dual_cndmask_b32 v5, v16, v5, vcc_lo
	s_delay_alu instid0(VALU_DEP_4) | instskip(NEXT) | instid1(VALU_DEP_2)
	v_cmp_ne_u32_e32 vcc_lo, 0, v3
	v_cmp_ne_u32_e64 s2, 0, v5
	s_delay_alu instid0(VALU_DEP_4) | instskip(NEXT) | instid1(VALU_DEP_1)
	v_dual_cndmask_b32 v3, v15, v13, vcc_lo :: v_dual_cndmask_b32 v5, v14, v12, vcc_lo
	v_dual_cndmask_b32 v3, v9, v3, s2 :: v_dual_cndmask_b32 v5, v8, v5, s2
	s_delay_alu instid0(VALU_DEP_1) | instskip(NEXT) | instid1(VALU_DEP_2)
	v_xor_b32_e32 v9, v3, v10
	v_xor_b32_e32 v8, v5, v10
	s_delay_alu instid0(VALU_DEP_1)
	v_sub_nc_u64_e32 v[10:11], v[8:9], v[10:11]
.LBB10_24:
	s_and_not1_saveexec_b32 s2, s3
	s_cbranch_execz .LBB10_26
; %bb.25:
	v_cvt_f32_u32_e32 v3, s16
	s_sub_co_i32 s3, 0, s16
	v_mov_b32_e32 v11, 0
	s_delay_alu instid0(VALU_DEP_2) | instskip(SKIP_1) | instid1(TRANS32_DEP_1)
	v_rcp_iflag_f32_e32 v3, v3
	v_nop
	v_mul_f32_e32 v3, 0x4f7ffffe, v3
	s_delay_alu instid0(VALU_DEP_1) | instskip(NEXT) | instid1(VALU_DEP_1)
	v_cvt_u32_f32_e32 v3, v3
	v_mul_lo_u32 v5, s3, v3
	s_delay_alu instid0(VALU_DEP_1) | instskip(NEXT) | instid1(VALU_DEP_1)
	v_mul_hi_u32 v5, v3, v5
	v_add_nc_u32_e32 v3, v3, v5
	s_delay_alu instid0(VALU_DEP_1) | instskip(NEXT) | instid1(VALU_DEP_1)
	v_mul_hi_u32 v3, v0, v3
	v_mul_lo_u32 v5, v3, s16
	s_delay_alu instid0(VALU_DEP_1) | instskip(NEXT) | instid1(VALU_DEP_1)
	v_sub_nc_u32_e32 v5, v0, v5
	v_subrev_nc_u32_e32 v8, s16, v5
	v_cmp_le_u32_e32 vcc_lo, s16, v5
	s_delay_alu instid0(VALU_DEP_2) | instskip(NEXT) | instid1(VALU_DEP_1)
	v_dual_add_nc_u32 v7, 1, v3 :: v_dual_cndmask_b32 v5, v5, v8, vcc_lo
	v_cndmask_b32_e32 v3, v3, v7, vcc_lo
	s_delay_alu instid0(VALU_DEP_2) | instskip(NEXT) | instid1(VALU_DEP_2)
	v_cmp_le_u32_e32 vcc_lo, s16, v5
	v_add_nc_u32_e32 v7, 1, v3
	s_delay_alu instid0(VALU_DEP_1)
	v_cndmask_b32_e32 v10, v3, v7, vcc_lo
.LBB10_26:
	s_or_b32 exec_lo, exec_lo, s2
	s_delay_alu instid0(VALU_DEP_1) | instskip(SKIP_1) | instid1(VALU_DEP_1)
	v_dual_mov_b32 v12, 0 :: v_dual_bitop2_b32 v13, s9, v11 bitop3:0x54
                                        ; implicit-def: $vgpr8_vgpr9
	s_mov_b32 s2, exec_lo
	v_cmpx_ne_u64_e32 0, v[12:13]
	s_xor_b32 s3, exec_lo, s2
	s_cbranch_execz .LBB10_28
; %bb.27:
	s_cvt_f32_u32 s2, s8
	s_cvt_f32_u32 s18, s9
	s_sub_nc_u64 s[24:25], 0, s[8:9]
	s_mov_b32 s29, 0
	v_dual_mov_b32 v8, v10 :: v_dual_mov_b32 v9, v12
	s_fmamk_f32 s2, s18, 0x4f800000, s2
	v_dual_mov_b32 v14, v11 :: v_dual_mov_b32 v15, v12
	v_dual_mov_b32 v19, v12 :: v_dual_mov_b32 v13, v12
	s_delay_alu instid0(SALU_CYCLE_1) | instskip(NEXT) | instid1(TRANS32_DEP_1)
	v_s_rcp_f32 s2, s2
	s_mul_f32 s2, s2, 0x5f7ffffc
	s_delay_alu instid0(SALU_CYCLE_3) | instskip(NEXT) | instid1(SALU_CYCLE_3)
	s_mul_f32 s18, s2, 0x2f800000
	s_trunc_f32 s18, s18
	s_delay_alu instid0(SALU_CYCLE_3) | instskip(SKIP_1) | instid1(SALU_CYCLE_2)
	s_fmamk_f32 s2, s18, 0xcf800000, s2
	s_cvt_u32_f32 s19, s18
	s_cvt_u32_f32 s18, s2
	s_delay_alu instid0(SALU_CYCLE_3) | instskip(NEXT) | instid1(SALU_CYCLE_1)
	s_mul_u64 s[26:27], s[24:25], s[18:19]
	s_mul_hi_u32 s31, s18, s27
	s_mul_i32 s30, s18, s27
	s_mul_hi_u32 s28, s18, s26
	s_mul_i32 s21, s19, s26
	s_add_nc_u64 s[30:31], s[28:29], s[30:31]
	s_mul_hi_u32 s2, s19, s26
	s_mul_hi_u32 s33, s19, s27
	s_add_co_u32 s21, s30, s21
	s_add_co_ci_u32 s28, s31, s2
	s_mul_i32 s26, s19, s27
	s_add_co_ci_u32 s27, s33, 0
	s_delay_alu instid0(SALU_CYCLE_1) | instskip(NEXT) | instid1(SALU_CYCLE_1)
	s_add_nc_u64 s[26:27], s[28:29], s[26:27]
	s_add_co_u32 s18, s18, s26
	s_cselect_b32 s2, -1, 0
	s_delay_alu instid0(SALU_CYCLE_1) | instskip(SKIP_1) | instid1(SALU_CYCLE_1)
	s_cmp_lg_u32 s2, 0
	s_add_co_ci_u32 s19, s19, s27
	s_mul_u64 s[24:25], s[24:25], s[18:19]
	s_delay_alu instid0(SALU_CYCLE_1)
	s_mul_hi_u32 s27, s18, s25
	s_mul_i32 s26, s18, s25
	s_mul_hi_u32 s28, s18, s24
	s_mul_i32 s21, s19, s24
	s_add_nc_u64 s[26:27], s[28:29], s[26:27]
	s_mul_hi_u32 s2, s19, s24
	s_mul_hi_u32 s30, s19, s25
	s_add_co_u32 s21, s26, s21
	s_add_co_ci_u32 s28, s27, s2
	s_mul_i32 s24, s19, s25
	s_add_co_ci_u32 s25, s30, 0
	s_delay_alu instid0(SALU_CYCLE_1) | instskip(NEXT) | instid1(SALU_CYCLE_1)
	s_add_nc_u64 s[24:25], s[28:29], s[24:25]
	s_add_co_u32 s2, s18, s24
	s_cselect_b32 s18, -1, 0
	v_nop
	v_mul_hi_u32 v18, v10, s2
	s_cmp_lg_u32 s18, 0
	s_add_co_ci_u32 s28, s19, s25
	s_mov_b64 s[18:19], 0xffffffff
	v_mul_u64_e32 v[8:9], s[28:29], v[8:9]
	s_and_b64 s[18:19], s[2:3], s[18:19]
	s_delay_alu instid0(SALU_CYCLE_1) | instskip(SKIP_1) | instid1(VALU_DEP_3)
	v_mul_u64_e32 v[16:17], s[18:19], v[14:15]
	v_mul_u64_e32 v[14:15], s[28:29], v[14:15]
	v_add_nc_u64_e32 v[8:9], v[18:19], v[8:9]
	s_delay_alu instid0(VALU_DEP_1) | instskip(NEXT) | instid1(VALU_DEP_2)
	v_add_co_u32 v3, vcc_lo, v8, v16
	v_add_co_ci_u32_e32 v12, vcc_lo, v9, v17, vcc_lo
	s_delay_alu instid0(VALU_DEP_4) | instskip(NEXT) | instid1(VALU_DEP_1)
	v_add_co_ci_u32_e32 v15, vcc_lo, 0, v15, vcc_lo
	v_add_nc_u64_e32 v[8:9], v[12:13], v[14:15]
	s_delay_alu instid0(VALU_DEP_1) | instskip(NEXT) | instid1(VALU_DEP_1)
	v_mul_u64_e32 v[8:9], s[8:9], v[8:9]
	v_sub_nc_u32_e32 v3, v11, v9
	s_delay_alu instid0(VALU_DEP_2) | instskip(NEXT) | instid1(VALU_DEP_1)
	v_sub_co_u32 v5, vcc_lo, v10, v8
	v_sub_co_ci_u32_e64 v7, null, v11, v9, vcc_lo
	s_delay_alu instid0(VALU_DEP_3) | instskip(NEXT) | instid1(VALU_DEP_3)
	v_subrev_co_ci_u32_e64 v3, null, s9, v3, vcc_lo
	v_sub_co_u32 v8, vcc_lo, v5, s8
	v_cmp_le_u32_e64 s2, s8, v5
	s_delay_alu instid0(VALU_DEP_3) | instskip(SKIP_1) | instid1(VALU_DEP_3)
	v_subrev_co_ci_u32_e64 v9, null, 0, v3, vcc_lo
	v_subrev_co_ci_u32_e64 v3, null, s9, v3, vcc_lo
	v_cndmask_b32_e64 v10, 0, -1, s2
	v_cmp_le_u32_e64 s2, s8, v8
	v_cmp_le_u32_e32 vcc_lo, s9, v7
	s_delay_alu instid0(VALU_DEP_2) | instskip(SKIP_3) | instid1(VALU_DEP_3)
	v_cndmask_b32_e64 v11, 0, -1, s2
	v_cmp_le_u32_e64 s2, s9, v9
	v_cndmask_b32_e64 v13, 0, -1, vcc_lo
	v_cmp_eq_u32_e32 vcc_lo, s9, v9
	v_cndmask_b32_e64 v12, 0, -1, s2
	s_delay_alu instid0(VALU_DEP_1) | instskip(SKIP_1) | instid1(VALU_DEP_1)
	v_cndmask_b32_e32 v9, v12, v11, vcc_lo
	v_sub_co_u32 v11, vcc_lo, v8, s8
	v_subrev_co_ci_u32_e64 v3, null, 0, v3, vcc_lo
	v_cmp_eq_u32_e32 vcc_lo, s9, v7
	v_cndmask_b32_e32 v3, v13, v10, vcc_lo
	v_cmp_ne_u32_e32 vcc_lo, 0, v9
	v_cndmask_b32_e32 v7, v8, v11, vcc_lo
	s_delay_alu instid0(VALU_DEP_3) | instskip(NEXT) | instid1(VALU_DEP_2)
	v_cmp_ne_u32_e32 vcc_lo, 0, v3
                                        ; implicit-def: $vgpr10_vgpr11
	v_cndmask_b32_e32 v8, v5, v7, vcc_lo
.LBB10_28:
	s_and_not1_saveexec_b32 s2, s3
	s_cbranch_execz .LBB10_30
; %bb.29:
	v_cvt_f32_u32_e32 v3, s8
	s_sub_co_i32 s3, 0, s8
	s_delay_alu instid0(VALU_DEP_1) | instskip(SKIP_1) | instid1(TRANS32_DEP_1)
	v_rcp_iflag_f32_e32 v3, v3
	v_nop
	v_mul_f32_e32 v3, 0x4f7ffffe, v3
	s_delay_alu instid0(VALU_DEP_1) | instskip(NEXT) | instid1(VALU_DEP_1)
	v_cvt_u32_f32_e32 v3, v3
	v_mul_lo_u32 v5, s3, v3
	s_delay_alu instid0(VALU_DEP_1) | instskip(NEXT) | instid1(VALU_DEP_1)
	v_mul_hi_u32 v5, v3, v5
	v_add_nc_u32_e32 v3, v3, v5
	s_delay_alu instid0(VALU_DEP_1) | instskip(NEXT) | instid1(VALU_DEP_1)
	v_mul_hi_u32 v3, v10, v3
	v_mul_lo_u32 v3, v3, s8
	s_delay_alu instid0(VALU_DEP_1) | instskip(NEXT) | instid1(VALU_DEP_1)
	v_sub_nc_u32_e32 v3, v10, v3
	v_subrev_nc_u32_e32 v5, s8, v3
	v_cmp_le_u32_e32 vcc_lo, s8, v3
	s_delay_alu instid0(VALU_DEP_2) | instskip(NEXT) | instid1(VALU_DEP_1)
	v_cndmask_b32_e32 v3, v3, v5, vcc_lo
	v_subrev_nc_u32_e32 v5, s8, v3
	v_cmp_le_u32_e32 vcc_lo, s8, v3
	s_delay_alu instid0(VALU_DEP_2)
	v_cndmask_b32_e32 v8, v3, v5, vcc_lo
.LBB10_30:
	s_or_b32 exec_lo, exec_lo, s2
	v_mul_lo_u32 v3, v4, s20
	s_load_b96 s[0:2], s[0:1], 0x50
	v_add_nc_u32_e32 v4, 1, v6
	v_cvt_f32_i32_e32 v6, v6
	s_mul_u64 s[18:19], s[14:15], s[12:13]
	s_delay_alu instid0(VALU_DEP_3) | instskip(SKIP_3) | instid1(VALU_DEP_4)
	v_dual_ashrrev_i32 v9, 31, v8 :: v_dual_sub_nc_u32 v3, v0, v3
	v_add_nc_u32_e32 v5, 1, v2
	v_cvt_f32_i32_e32 v2, v2
	v_cvt_f32_i32_e32 v4, v4
	v_add_nc_u32_e32 v7, 1, v3
	s_delay_alu instid0(VALU_DEP_4) | instskip(SKIP_2) | instid1(VALU_DEP_2)
	v_cvt_f32_i32_e32 v5, v5
	v_cvt_f32_i32_e32 v3, v3
	s_wait_kmcnt 0x0
	v_dual_mul_f32 v2, s0, v2 :: v_dual_mul_f32 v5, s0, v5
	v_dual_mul_f32 v6, s1, v6 :: v_dual_mul_f32 v4, s1, v4
	v_cvt_f32_i32_e32 v7, v7
	s_delay_alu instid0(VALU_DEP_3) | instskip(NEXT) | instid1(VALU_DEP_4)
	v_ceil_f32_e32 v2, v2
	v_ceil_f32_e32 v5, v5
	s_delay_alu instid0(VALU_DEP_4) | instskip(SKIP_1) | instid1(VALU_DEP_4)
	v_ceil_f32_e32 v6, v6
	v_ceil_f32_e32 v4, v4
	v_cvt_i32_f32_e32 v2, v2
	s_delay_alu instid0(VALU_DEP_4)
	v_cvt_i32_f32_e32 v5, v5
	v_mul_f32_e32 v7, s2, v7
	v_cvt_i32_f32_e32 v6, v6
	v_mul_f32_e32 v3, s2, v3
	v_cvt_i32_f32_e32 v4, v4
	v_min_i32_e32 v19, s10, v5
	v_ceil_f32_e32 v7, v7
	v_min_i32_e32 v18, s12, v6
	v_ceil_f32_e32 v3, v3
	v_min_i32_e32 v20, s12, v4
	v_min_i32_e32 v22, s10, v2
	v_cvt_i32_f32_e32 v7, v7
	v_cmp_gt_i32_e64 s0, v19, v2
	v_cvt_i32_f32_e32 v3, v3
	v_cmp_gt_i32_e64 s1, v20, v6
	s_mul_u64 s[10:11], s[18:19], s[10:11]
	v_min_i32_e32 v21, s14, v7
	s_mul_u64 s[12:13], s[16:17], s[8:9]
	v_min_i32_e32 v23, s14, v3
	s_mov_b64 s[16:17], 0
	s_delay_alu instid0(VALU_DEP_2)
	v_cmp_gt_i32_e64 s2, v21, v3
	s_branch .LBB10_33
.LBB10_31:                              ;   in Loop: Header=BB10_33 Depth=1
	s_or_b32 exec_lo, exec_lo, s20
.LBB10_32:                              ;   in Loop: Header=BB10_33 Depth=1
	s_delay_alu instid0(SALU_CYCLE_1)
	s_or_b32 exec_lo, exec_lo, s3
	s_add_nc_u64 s[16:17], s[16:17], 1
	v_lshl_add_u64 v[4:5], v[0:1], 3, s[22:23]
	v_cmp_le_u64_e64 s3, s[6:7], s[16:17]
	v_add_nc_u64_e32 v[0:1], s[12:13], v[0:1]
	global_store_b64 v[4:5], v[2:3], off
	s_and_b32 vcc_lo, exec_lo, s3
	s_cbranch_vccnz .LBB10_44
.LBB10_33:                              ; =>This Loop Header: Depth=1
                                        ;     Child Loop BB10_37 Depth 2
                                        ;       Child Loop BB10_40 Depth 3
                                        ;         Child Loop BB10_42 Depth 4
	s_wait_xcnt 0x0
	v_mov_b64_e32 v[2:3], 0
	s_and_saveexec_b32 s3, s0
	s_cbranch_execz .LBB10_32
; %bb.34:                               ;   in Loop: Header=BB10_33 Depth=1
	v_mad_nc_u64_u32 v[2:3], s16, s8, v[8:9]
	s_mul_i32 s20, s17, s8
	s_mul_i32 s21, s16, s9
	v_mov_b32_e32 v6, v22
	s_delay_alu instid0(VALU_DEP_2) | instskip(SKIP_1) | instid1(VALU_DEP_1)
	v_add3_u32 v3, s21, s20, v3
	s_mov_b32 s20, 0
	v_mul_u64_e32 v[4:5], s[10:11], v[2:3]
	v_mov_b64_e32 v[2:3], 0
	s_delay_alu instid0(VALU_DEP_2)
	v_lshl_add_u64 v[4:5], v[4:5], 3, s[4:5]
	s_branch .LBB10_37
.LBB10_35:                              ;   in Loop: Header=BB10_37 Depth=2
	s_or_b32 exec_lo, exec_lo, s24
.LBB10_36:                              ;   in Loop: Header=BB10_37 Depth=2
	s_delay_alu instid0(SALU_CYCLE_1) | instskip(SKIP_1) | instid1(VALU_DEP_1)
	s_or_b32 exec_lo, exec_lo, s21
	v_add_nc_u32_e32 v6, 1, v6
	v_cmp_ge_i32_e32 vcc_lo, v6, v19
	s_or_b32 s20, vcc_lo, s20
	s_delay_alu instid0(SALU_CYCLE_1)
	s_and_not1_b32 exec_lo, exec_lo, s20
	s_cbranch_execz .LBB10_31
.LBB10_37:                              ;   Parent Loop BB10_33 Depth=1
                                        ; =>  This Loop Header: Depth=2
                                        ;       Child Loop BB10_40 Depth 3
                                        ;         Child Loop BB10_42 Depth 4
	s_and_saveexec_b32 s21, s1
	s_cbranch_execz .LBB10_36
; %bb.38:                               ;   in Loop: Header=BB10_37 Depth=2
	v_dual_mov_b32 v12, v18 :: v_dual_ashrrev_i32 v7, 31, v6
	s_mov_b32 s24, 0
	s_delay_alu instid0(VALU_DEP_1) | instskip(NEXT) | instid1(VALU_DEP_1)
	v_mul_u64_e32 v[10:11], s[18:19], v[6:7]
	v_lshl_add_u64 v[10:11], v[10:11], 3, v[4:5]
	s_branch .LBB10_40
.LBB10_39:                              ;   in Loop: Header=BB10_40 Depth=3
	s_or_b32 exec_lo, exec_lo, s25
	v_add_nc_u32_e32 v12, 1, v12
	s_delay_alu instid0(VALU_DEP_1) | instskip(SKIP_1) | instid1(SALU_CYCLE_1)
	v_cmp_ge_i32_e32 vcc_lo, v12, v20
	s_or_b32 s24, vcc_lo, s24
	s_and_not1_b32 exec_lo, exec_lo, s24
	s_cbranch_execz .LBB10_35
.LBB10_40:                              ;   Parent Loop BB10_33 Depth=1
                                        ;     Parent Loop BB10_37 Depth=2
                                        ; =>    This Loop Header: Depth=3
                                        ;         Child Loop BB10_42 Depth 4
	s_and_saveexec_b32 s25, s2
	s_cbranch_execz .LBB10_39
; %bb.41:                               ;   in Loop: Header=BB10_40 Depth=3
	v_dual_mov_b32 v16, v23 :: v_dual_ashrrev_i32 v13, 31, v12
	s_mov_b32 s26, 0
	s_delay_alu instid0(VALU_DEP_1) | instskip(NEXT) | instid1(VALU_DEP_1)
	v_mul_u64_e32 v[14:15], s[14:15], v[12:13]
	v_lshl_add_u64 v[14:15], v[14:15], 3, v[10:11]
.LBB10_42:                              ;   Parent Loop BB10_33 Depth=1
                                        ;     Parent Loop BB10_37 Depth=2
                                        ;       Parent Loop BB10_40 Depth=3
                                        ; =>      This Inner Loop Header: Depth=4
	s_delay_alu instid0(VALU_DEP_3) | instskip(NEXT) | instid1(VALU_DEP_1)
	v_ashrrev_i32_e32 v17, 31, v16
	v_lshl_add_u64 v[24:25], v[16:17], 3, v[14:15]
	v_add_nc_u32_e32 v16, 1, v16
	global_load_b64 v[24:25], v[24:25], off
	v_cmp_ge_i32_e32 vcc_lo, v16, v21
	s_or_b32 s26, vcc_lo, s26
	s_wait_loadcnt 0x0
	v_add_f64_e32 v[2:3], v[2:3], v[24:25]
	s_wait_xcnt 0x0
	s_and_not1_b32 exec_lo, exec_lo, s26
	s_cbranch_execnz .LBB10_42
; %bb.43:                               ;   in Loop: Header=BB10_40 Depth=3
	s_or_b32 exec_lo, exec_lo, s26
	s_branch .LBB10_39
.LBB10_44:
	s_endpgm
	.section	.rodata,"a",@progbits
	.p2align	6, 0x0
	.amdhsa_kernel _ZN2at6native12_GLOBAL__N_137upsample_nearest3d_backward_out_frameIddXadL_ZNS0_40nearest_neighbor_bw_compute_source_indexEfiiEEEEvPKT_mmmmmmmmPS3_fff
		.amdhsa_group_segment_fixed_size 0
		.amdhsa_private_segment_fixed_size 0
		.amdhsa_kernarg_size 352
		.amdhsa_user_sgpr_count 2
		.amdhsa_user_sgpr_dispatch_ptr 0
		.amdhsa_user_sgpr_queue_ptr 0
		.amdhsa_user_sgpr_kernarg_segment_ptr 1
		.amdhsa_user_sgpr_dispatch_id 0
		.amdhsa_user_sgpr_kernarg_preload_length 0
		.amdhsa_user_sgpr_kernarg_preload_offset 0
		.amdhsa_user_sgpr_private_segment_size 0
		.amdhsa_wavefront_size32 1
		.amdhsa_uses_dynamic_stack 0
		.amdhsa_enable_private_segment 0
		.amdhsa_system_sgpr_workgroup_id_x 1
		.amdhsa_system_sgpr_workgroup_id_y 0
		.amdhsa_system_sgpr_workgroup_id_z 0
		.amdhsa_system_sgpr_workgroup_info 0
		.amdhsa_system_vgpr_workitem_id 0
		.amdhsa_next_free_vgpr 26
		.amdhsa_next_free_sgpr 39
		.amdhsa_named_barrier_count 0
		.amdhsa_reserve_vcc 1
		.amdhsa_float_round_mode_32 0
		.amdhsa_float_round_mode_16_64 0
		.amdhsa_float_denorm_mode_32 3
		.amdhsa_float_denorm_mode_16_64 3
		.amdhsa_fp16_overflow 0
		.amdhsa_memory_ordered 1
		.amdhsa_forward_progress 1
		.amdhsa_inst_pref_size 45
		.amdhsa_round_robin_scheduling 0
		.amdhsa_exception_fp_ieee_invalid_op 0
		.amdhsa_exception_fp_denorm_src 0
		.amdhsa_exception_fp_ieee_div_zero 0
		.amdhsa_exception_fp_ieee_overflow 0
		.amdhsa_exception_fp_ieee_underflow 0
		.amdhsa_exception_fp_ieee_inexact 0
		.amdhsa_exception_int_div_zero 0
	.end_amdhsa_kernel
	.section	.text._ZN2at6native12_GLOBAL__N_137upsample_nearest3d_backward_out_frameIddXadL_ZNS0_40nearest_neighbor_bw_compute_source_indexEfiiEEEEvPKT_mmmmmmmmPS3_fff,"axG",@progbits,_ZN2at6native12_GLOBAL__N_137upsample_nearest3d_backward_out_frameIddXadL_ZNS0_40nearest_neighbor_bw_compute_source_indexEfiiEEEEvPKT_mmmmmmmmPS3_fff,comdat
.Lfunc_end10:
	.size	_ZN2at6native12_GLOBAL__N_137upsample_nearest3d_backward_out_frameIddXadL_ZNS0_40nearest_neighbor_bw_compute_source_indexEfiiEEEEvPKT_mmmmmmmmPS3_fff, .Lfunc_end10-_ZN2at6native12_GLOBAL__N_137upsample_nearest3d_backward_out_frameIddXadL_ZNS0_40nearest_neighbor_bw_compute_source_indexEfiiEEEEvPKT_mmmmmmmmPS3_fff
                                        ; -- End function
	.set _ZN2at6native12_GLOBAL__N_137upsample_nearest3d_backward_out_frameIddXadL_ZNS0_40nearest_neighbor_bw_compute_source_indexEfiiEEEEvPKT_mmmmmmmmPS3_fff.num_vgpr, 26
	.set _ZN2at6native12_GLOBAL__N_137upsample_nearest3d_backward_out_frameIddXadL_ZNS0_40nearest_neighbor_bw_compute_source_indexEfiiEEEEvPKT_mmmmmmmmPS3_fff.num_agpr, 0
	.set _ZN2at6native12_GLOBAL__N_137upsample_nearest3d_backward_out_frameIddXadL_ZNS0_40nearest_neighbor_bw_compute_source_indexEfiiEEEEvPKT_mmmmmmmmPS3_fff.numbered_sgpr, 39
	.set _ZN2at6native12_GLOBAL__N_137upsample_nearest3d_backward_out_frameIddXadL_ZNS0_40nearest_neighbor_bw_compute_source_indexEfiiEEEEvPKT_mmmmmmmmPS3_fff.num_named_barrier, 0
	.set _ZN2at6native12_GLOBAL__N_137upsample_nearest3d_backward_out_frameIddXadL_ZNS0_40nearest_neighbor_bw_compute_source_indexEfiiEEEEvPKT_mmmmmmmmPS3_fff.private_seg_size, 0
	.set _ZN2at6native12_GLOBAL__N_137upsample_nearest3d_backward_out_frameIddXadL_ZNS0_40nearest_neighbor_bw_compute_source_indexEfiiEEEEvPKT_mmmmmmmmPS3_fff.uses_vcc, 1
	.set _ZN2at6native12_GLOBAL__N_137upsample_nearest3d_backward_out_frameIddXadL_ZNS0_40nearest_neighbor_bw_compute_source_indexEfiiEEEEvPKT_mmmmmmmmPS3_fff.uses_flat_scratch, 0
	.set _ZN2at6native12_GLOBAL__N_137upsample_nearest3d_backward_out_frameIddXadL_ZNS0_40nearest_neighbor_bw_compute_source_indexEfiiEEEEvPKT_mmmmmmmmPS3_fff.has_dyn_sized_stack, 0
	.set _ZN2at6native12_GLOBAL__N_137upsample_nearest3d_backward_out_frameIddXadL_ZNS0_40nearest_neighbor_bw_compute_source_indexEfiiEEEEvPKT_mmmmmmmmPS3_fff.has_recursion, 0
	.set _ZN2at6native12_GLOBAL__N_137upsample_nearest3d_backward_out_frameIddXadL_ZNS0_40nearest_neighbor_bw_compute_source_indexEfiiEEEEvPKT_mmmmmmmmPS3_fff.has_indirect_call, 0
	.section	.AMDGPU.csdata,"",@progbits
; Kernel info:
; codeLenInByte = 5684
; TotalNumSgprs: 41
; NumVgprs: 26
; ScratchSize: 0
; MemoryBound: 0
; FloatMode: 240
; IeeeMode: 1
; LDSByteSize: 0 bytes/workgroup (compile time only)
; SGPRBlocks: 0
; VGPRBlocks: 1
; NumSGPRsForWavesPerEU: 41
; NumVGPRsForWavesPerEU: 26
; NamedBarCnt: 0
; Occupancy: 16
; WaveLimiterHint : 0
; COMPUTE_PGM_RSRC2:SCRATCH_EN: 0
; COMPUTE_PGM_RSRC2:USER_SGPR: 2
; COMPUTE_PGM_RSRC2:TRAP_HANDLER: 0
; COMPUTE_PGM_RSRC2:TGID_X_EN: 1
; COMPUTE_PGM_RSRC2:TGID_Y_EN: 0
; COMPUTE_PGM_RSRC2:TGID_Z_EN: 0
; COMPUTE_PGM_RSRC2:TIDIG_COMP_CNT: 0
	.section	.text._ZN2at6native12_GLOBAL__N_137upsample_nearest3d_backward_out_frameIffXadL_ZNS0_40nearest_neighbor_bw_compute_source_indexEfiiEEEEvPKT_mmmmmmmmPS3_fff,"axG",@progbits,_ZN2at6native12_GLOBAL__N_137upsample_nearest3d_backward_out_frameIffXadL_ZNS0_40nearest_neighbor_bw_compute_source_indexEfiiEEEEvPKT_mmmmmmmmPS3_fff,comdat
	.globl	_ZN2at6native12_GLOBAL__N_137upsample_nearest3d_backward_out_frameIffXadL_ZNS0_40nearest_neighbor_bw_compute_source_indexEfiiEEEEvPKT_mmmmmmmmPS3_fff ; -- Begin function _ZN2at6native12_GLOBAL__N_137upsample_nearest3d_backward_out_frameIffXadL_ZNS0_40nearest_neighbor_bw_compute_source_indexEfiiEEEEvPKT_mmmmmmmmPS3_fff
	.p2align	8
	.type	_ZN2at6native12_GLOBAL__N_137upsample_nearest3d_backward_out_frameIffXadL_ZNS0_40nearest_neighbor_bw_compute_source_indexEfiiEEEEvPKT_mmmmmmmmPS3_fff,@function
_ZN2at6native12_GLOBAL__N_137upsample_nearest3d_backward_out_frameIffXadL_ZNS0_40nearest_neighbor_bw_compute_source_indexEfiiEEEEvPKT_mmmmmmmmPS3_fff: ; @_ZN2at6native12_GLOBAL__N_137upsample_nearest3d_backward_out_frameIffXadL_ZNS0_40nearest_neighbor_bw_compute_source_indexEfiiEEEEvPKT_mmmmmmmmPS3_fff
; %bb.0:
	s_clause 0x2
	s_load_b32 s2, s[0:1], 0x6c
	s_load_b512 s[4:19], s[0:1], 0x0
	s_load_b128 s[20:23], s[0:1], 0x40
	s_bfe_u32 s3, ttmp6, 0x4000c
	v_mov_b32_e32 v2, 0
	s_add_co_i32 s3, s3, 1
	s_and_b32 s24, ttmp6, 15
	s_mul_i32 s3, ttmp9, s3
	s_getreg_b32 s25, hwreg(HW_REG_IB_STS2, 6, 4)
	v_mov_b32_e32 v1, v2
	s_add_co_i32 s24, s24, s3
	s_wait_kmcnt 0x0
	s_and_b32 s2, s2, 0xffff
	s_cmp_eq_u32 s25, 0
	s_cselect_b32 s3, ttmp9, s24
	s_mul_u64 s[24:25], s[18:19], s[16:17]
	v_mad_nc_u64_u32 v[0:1], s2, s3, v[0:1]
	s_mul_u64 s[2:3], s[24:25], s[8:9]
	s_delay_alu instid0(SALU_CYCLE_1)
	s_mul_u64 s[2:3], s[2:3], s[20:21]
	s_delay_alu instid0(VALU_DEP_1) | instid1(SALU_CYCLE_1)
	v_cmp_gt_u64_e32 vcc_lo, s[2:3], v[0:1]
	s_and_saveexec_b32 s2, vcc_lo
	s_cbranch_execz .LBB11_44
; %bb.1:
	v_or_b32_e32 v3, s19, v1
	s_delay_alu instid0(VALU_DEP_1) | instskip(SKIP_1) | instid1(SALU_CYCLE_1)
	v_cmp_ne_u64_e32 vcc_lo, 0, v[2:3]
                                        ; implicit-def: $vgpr2_vgpr3
	s_and_saveexec_b32 s2, vcc_lo
	s_xor_b32 s3, exec_lo, s2
	s_cbranch_execz .LBB11_3
; %bb.2:
	s_cvt_f32_u32 s2, s18
	s_cvt_f32_u32 s26, s19
	s_sub_nc_u64 s[28:29], 0, s[18:19]
	s_mov_b32 s35, 0
	v_dual_mov_b32 v3, 0 :: v_dual_mov_b32 v2, v0
	s_fmamk_f32 s2, s26, 0x4f800000, s2
	s_delay_alu instid0(SALU_CYCLE_3) | instskip(NEXT) | instid1(TRANS32_DEP_1)
	v_s_rcp_f32 s2, s2
	s_mul_f32 s2, s2, 0x5f7ffffc
	s_delay_alu instid0(SALU_CYCLE_3) | instskip(NEXT) | instid1(SALU_CYCLE_3)
	s_mul_f32 s26, s2, 0x2f800000
	s_trunc_f32 s26, s26
	s_delay_alu instid0(SALU_CYCLE_3) | instskip(SKIP_1) | instid1(SALU_CYCLE_2)
	s_fmamk_f32 s2, s26, 0xcf800000, s2
	s_cvt_u32_f32 s27, s26
	s_cvt_u32_f32 s26, s2
	s_delay_alu instid0(SALU_CYCLE_3) | instskip(NEXT) | instid1(SALU_CYCLE_1)
	s_mul_u64 s[30:31], s[28:29], s[26:27]
	s_mul_hi_u32 s37, s26, s31
	s_mul_i32 s36, s26, s31
	s_mul_hi_u32 s34, s26, s30
	s_mul_i32 s33, s27, s30
	s_add_nc_u64 s[36:37], s[34:35], s[36:37]
	s_mul_hi_u32 s2, s27, s30
	s_mul_hi_u32 s38, s27, s31
	s_mul_i32 s30, s27, s31
	s_add_co_u32 s31, s36, s33
	s_add_co_ci_u32 s34, s37, s2
	s_add_co_ci_u32 s31, s38, 0
	s_delay_alu instid0(SALU_CYCLE_1) | instskip(NEXT) | instid1(SALU_CYCLE_1)
	s_add_nc_u64 s[30:31], s[34:35], s[30:31]
	s_add_co_u32 s26, s26, s30
	s_cselect_b32 s2, -1, 0
	s_delay_alu instid0(SALU_CYCLE_1) | instskip(SKIP_1) | instid1(SALU_CYCLE_1)
	s_cmp_lg_u32 s2, 0
	s_add_co_ci_u32 s27, s27, s31
	s_mul_u64 s[28:29], s[28:29], s[26:27]
	s_delay_alu instid0(SALU_CYCLE_1)
	s_mul_hi_u32 s31, s26, s29
	s_mul_i32 s30, s26, s29
	s_mul_hi_u32 s34, s26, s28
	s_mul_i32 s33, s27, s28
	s_add_nc_u64 s[30:31], s[34:35], s[30:31]
	s_mul_hi_u32 s2, s27, s28
	s_mul_hi_u32 s36, s27, s29
	s_mul_i32 s28, s27, s29
	s_add_co_u32 s29, s30, s33
	s_add_co_ci_u32 s34, s31, s2
	s_add_co_ci_u32 s29, s36, 0
	s_delay_alu instid0(SALU_CYCLE_1) | instskip(NEXT) | instid1(SALU_CYCLE_1)
	s_add_nc_u64 s[28:29], s[34:35], s[28:29]
	s_add_co_u32 s2, s26, s28
	s_cselect_b32 s26, -1, 0
	s_delay_alu instid0(SALU_CYCLE_1)
	s_cmp_lg_u32 s26, 0
	s_add_co_ci_u32 s34, s27, s29
	s_mov_b64 s[26:27], 0xffffffff
	v_mul_u64_e32 v[4:5], s[34:35], v[2:3]
	v_mul_hi_u32 v2, v0, s2
	s_and_b64 s[26:27], s[2:3], s[26:27]
	s_delay_alu instid0(VALU_DEP_1) | instskip(SKIP_1) | instid1(VALU_DEP_1)
	v_add_nc_u64_e32 v[4:5], v[2:3], v[4:5]
	v_mov_b32_e32 v2, v1
	v_mul_u64_e32 v[6:7], s[26:27], v[2:3]
	v_mul_u64_e32 v[8:9], s[34:35], v[2:3]
	s_delay_alu instid0(VALU_DEP_2) | instskip(NEXT) | instid1(VALU_DEP_3)
	v_add_co_u32 v2, vcc_lo, v4, v6
	v_add_co_ci_u32_e32 v2, vcc_lo, v5, v7, vcc_lo
	s_delay_alu instid0(VALU_DEP_3) | instskip(NEXT) | instid1(VALU_DEP_1)
	v_add_co_ci_u32_e32 v9, vcc_lo, 0, v9, vcc_lo
	v_add_nc_u64_e32 v[2:3], v[2:3], v[8:9]
	s_delay_alu instid0(VALU_DEP_1) | instskip(NEXT) | instid1(VALU_DEP_1)
	v_mul_u64_e32 v[4:5], s[18:19], v[2:3]
	v_sub_nc_u32_e32 v6, v1, v5
	s_delay_alu instid0(VALU_DEP_2) | instskip(NEXT) | instid1(VALU_DEP_1)
	v_sub_co_u32 v4, vcc_lo, v0, v4
	v_sub_co_ci_u32_e64 v11, null, v1, v5, vcc_lo
	s_delay_alu instid0(VALU_DEP_3) | instskip(NEXT) | instid1(VALU_DEP_3)
	v_subrev_co_ci_u32_e64 v6, null, s19, v6, vcc_lo
	v_sub_co_u32 v8, s2, v4, s18
	v_cmp_le_u32_e32 vcc_lo, s18, v4
	s_delay_alu instid0(VALU_DEP_3) | instskip(NEXT) | instid1(VALU_DEP_3)
	v_subrev_co_ci_u32_e64 v9, null, 0, v6, s2
	v_cmp_le_u32_e64 s2, s18, v8
	v_add_nc_u64_e32 v[6:7], 2, v[2:3]
	v_cndmask_b32_e64 v12, 0, -1, vcc_lo
	s_delay_alu instid0(VALU_DEP_4) | instskip(SKIP_3) | instid1(VALU_DEP_1)
	v_cmp_eq_u32_e32 vcc_lo, s19, v9
	v_add_nc_u64_e32 v[4:5], 1, v[2:3]
	v_cndmask_b32_e64 v8, 0, -1, s2
	v_cmp_le_u32_e64 s2, s19, v9
	v_cndmask_b32_e64 v10, 0, -1, s2
	v_cmp_eq_u32_e64 s2, s19, v11
	s_delay_alu instid0(VALU_DEP_2) | instskip(SKIP_2) | instid1(VALU_DEP_3)
	v_cndmask_b32_e32 v8, v10, v8, vcc_lo
	v_cmp_le_u32_e32 vcc_lo, s19, v11
	v_cndmask_b32_e64 v9, 0, -1, vcc_lo
	v_cmp_ne_u32_e32 vcc_lo, 0, v8
	s_delay_alu instid0(VALU_DEP_2) | instskip(SKIP_1) | instid1(VALU_DEP_2)
	v_dual_cndmask_b32 v8, v9, v12, s2 :: v_dual_cndmask_b32 v4, v4, v6, vcc_lo
	v_cndmask_b32_e32 v5, v5, v7, vcc_lo
	v_cmp_ne_u32_e32 vcc_lo, 0, v8
	s_delay_alu instid0(VALU_DEP_2)
	v_dual_cndmask_b32 v3, v3, v5 :: v_dual_cndmask_b32 v2, v2, v4
.LBB11_3:
	s_and_not1_saveexec_b32 s2, s3
	s_cbranch_execz .LBB11_5
; %bb.4:
	v_cvt_f32_u32_e32 v2, s18
	s_sub_co_i32 s3, 0, s18
	s_delay_alu instid0(VALU_DEP_1) | instskip(SKIP_1) | instid1(TRANS32_DEP_1)
	v_rcp_iflag_f32_e32 v2, v2
	v_nop
	v_mul_f32_e32 v2, 0x4f7ffffe, v2
	s_delay_alu instid0(VALU_DEP_1) | instskip(NEXT) | instid1(VALU_DEP_1)
	v_cvt_u32_f32_e32 v2, v2
	v_mul_lo_u32 v3, s3, v2
	s_delay_alu instid0(VALU_DEP_1) | instskip(NEXT) | instid1(VALU_DEP_1)
	v_mul_hi_u32 v3, v2, v3
	v_add_nc_u32_e32 v2, v2, v3
	s_delay_alu instid0(VALU_DEP_1) | instskip(NEXT) | instid1(VALU_DEP_1)
	v_mul_hi_u32 v2, v0, v2
	v_mul_lo_u32 v3, v2, s18
	s_delay_alu instid0(VALU_DEP_1) | instskip(NEXT) | instid1(VALU_DEP_1)
	v_dual_add_nc_u32 v4, 1, v2 :: v_dual_sub_nc_u32 v3, v0, v3
	v_subrev_nc_u32_e32 v5, s18, v3
	v_cmp_le_u32_e32 vcc_lo, s18, v3
	s_delay_alu instid0(VALU_DEP_2) | instskip(NEXT) | instid1(VALU_DEP_1)
	v_dual_cndmask_b32 v3, v3, v5 :: v_dual_cndmask_b32 v2, v2, v4
	v_cmp_le_u32_e32 vcc_lo, s18, v3
	s_delay_alu instid0(VALU_DEP_2) | instskip(NEXT) | instid1(VALU_DEP_1)
	v_dual_mov_b32 v3, 0 :: v_dual_add_nc_u32 v4, 1, v2
	v_cndmask_b32_e32 v2, v2, v4, vcc_lo
.LBB11_5:
	s_or_b32 exec_lo, exec_lo, s2
	s_delay_alu instid0(VALU_DEP_1) | instskip(SKIP_1) | instid1(VALU_DEP_1)
	v_dual_mov_b32 v6, 0 :: v_dual_bitop2_b32 v7, s21, v3 bitop3:0x54
                                        ; implicit-def: $vgpr4_vgpr5
	s_mov_b32 s2, exec_lo
	v_cmpx_ne_u64_e32 0, v[6:7]
	s_xor_b32 s3, exec_lo, s2
	s_cbranch_execz .LBB11_7
; %bb.6:
	s_cvt_f32_u32 s2, s20
	s_cvt_f32_u32 s26, s21
	s_sub_nc_u64 s[28:29], 0, s[20:21]
	s_mov_b32 s35, 0
	v_dual_mov_b32 v4, v2 :: v_dual_mov_b32 v5, v6
	s_fmamk_f32 s2, s26, 0x4f800000, s2
	v_dual_mov_b32 v8, v3 :: v_dual_mov_b32 v9, v6
	v_dual_mov_b32 v13, v6 :: v_dual_mov_b32 v7, v6
	s_delay_alu instid0(SALU_CYCLE_1) | instskip(NEXT) | instid1(TRANS32_DEP_1)
	v_s_rcp_f32 s2, s2
	s_mul_f32 s2, s2, 0x5f7ffffc
	s_delay_alu instid0(SALU_CYCLE_3) | instskip(NEXT) | instid1(SALU_CYCLE_3)
	s_mul_f32 s26, s2, 0x2f800000
	s_trunc_f32 s26, s26
	s_delay_alu instid0(SALU_CYCLE_3) | instskip(SKIP_1) | instid1(SALU_CYCLE_2)
	s_fmamk_f32 s2, s26, 0xcf800000, s2
	s_cvt_u32_f32 s27, s26
	s_cvt_u32_f32 s26, s2
	s_delay_alu instid0(SALU_CYCLE_3) | instskip(NEXT) | instid1(SALU_CYCLE_1)
	s_mul_u64 s[30:31], s[28:29], s[26:27]
	s_mul_hi_u32 s37, s26, s31
	s_mul_i32 s36, s26, s31
	s_mul_hi_u32 s34, s26, s30
	s_mul_i32 s33, s27, s30
	s_add_nc_u64 s[36:37], s[34:35], s[36:37]
	s_mul_hi_u32 s2, s27, s30
	s_mul_hi_u32 s38, s27, s31
	s_mul_i32 s30, s27, s31
	s_add_co_u32 s31, s36, s33
	s_add_co_ci_u32 s34, s37, s2
	s_add_co_ci_u32 s31, s38, 0
	s_delay_alu instid0(SALU_CYCLE_1) | instskip(NEXT) | instid1(SALU_CYCLE_1)
	s_add_nc_u64 s[30:31], s[34:35], s[30:31]
	s_add_co_u32 s26, s26, s30
	s_cselect_b32 s2, -1, 0
	s_delay_alu instid0(SALU_CYCLE_1) | instskip(SKIP_1) | instid1(SALU_CYCLE_1)
	s_cmp_lg_u32 s2, 0
	s_add_co_ci_u32 s27, s27, s31
	s_mul_u64 s[28:29], s[28:29], s[26:27]
	s_delay_alu instid0(SALU_CYCLE_1)
	s_mul_hi_u32 s31, s26, s29
	s_mul_i32 s30, s26, s29
	s_mul_hi_u32 s34, s26, s28
	s_mul_i32 s33, s27, s28
	s_add_nc_u64 s[30:31], s[34:35], s[30:31]
	s_mul_hi_u32 s2, s27, s28
	s_mul_hi_u32 s36, s27, s29
	s_mul_i32 s28, s27, s29
	s_add_co_u32 s29, s30, s33
	s_add_co_ci_u32 s34, s31, s2
	s_add_co_ci_u32 s29, s36, 0
	s_delay_alu instid0(SALU_CYCLE_1) | instskip(NEXT) | instid1(SALU_CYCLE_1)
	s_add_nc_u64 s[28:29], s[34:35], s[28:29]
	s_add_co_u32 s2, s26, s28
	s_cselect_b32 s26, -1, 0
	v_nop
	v_mul_hi_u32 v12, v2, s2
	s_cmp_lg_u32 s26, 0
	s_add_co_ci_u32 s34, s27, s29
	s_mov_b64 s[26:27], 0xffffffff
	v_mul_u64_e32 v[4:5], s[34:35], v[4:5]
	s_and_b64 s[26:27], s[2:3], s[26:27]
	s_delay_alu instid0(SALU_CYCLE_1) | instskip(SKIP_1) | instid1(VALU_DEP_3)
	v_mul_u64_e32 v[10:11], s[26:27], v[8:9]
	v_mul_u64_e32 v[8:9], s[34:35], v[8:9]
	v_add_nc_u64_e32 v[4:5], v[12:13], v[4:5]
	s_delay_alu instid0(VALU_DEP_1) | instskip(NEXT) | instid1(VALU_DEP_2)
	v_add_co_u32 v4, vcc_lo, v4, v10
	v_add_co_ci_u32_e32 v6, vcc_lo, v5, v11, vcc_lo
	s_delay_alu instid0(VALU_DEP_4) | instskip(NEXT) | instid1(VALU_DEP_1)
	v_add_co_ci_u32_e32 v9, vcc_lo, 0, v9, vcc_lo
	v_add_nc_u64_e32 v[4:5], v[6:7], v[8:9]
	s_delay_alu instid0(VALU_DEP_1) | instskip(NEXT) | instid1(VALU_DEP_1)
	v_mul_u64_e32 v[6:7], s[20:21], v[4:5]
	v_sub_nc_u32_e32 v8, v3, v7
	s_delay_alu instid0(VALU_DEP_2) | instskip(NEXT) | instid1(VALU_DEP_1)
	v_sub_co_u32 v2, vcc_lo, v2, v6
	v_sub_co_ci_u32_e64 v7, null, v3, v7, vcc_lo
	s_delay_alu instid0(VALU_DEP_3) | instskip(NEXT) | instid1(VALU_DEP_3)
	v_subrev_co_ci_u32_e64 v6, null, s21, v8, vcc_lo
	v_sub_co_u32 v10, s2, v2, s20
	v_cmp_le_u32_e32 vcc_lo, s20, v2
	s_delay_alu instid0(VALU_DEP_3) | instskip(NEXT) | instid1(VALU_DEP_3)
	v_subrev_co_ci_u32_e64 v6, null, 0, v6, s2
	v_cmp_le_u32_e64 s2, s20, v10
	v_add_nc_u64_e32 v[8:9], 2, v[4:5]
	v_cndmask_b32_e64 v12, 0, -1, vcc_lo
	s_delay_alu instid0(VALU_DEP_4) | instskip(SKIP_3) | instid1(VALU_DEP_1)
	v_cmp_eq_u32_e32 vcc_lo, s21, v6
	v_add_nc_u64_e32 v[2:3], 1, v[4:5]
	v_cndmask_b32_e64 v10, 0, -1, s2
	v_cmp_le_u32_e64 s2, s21, v6
	v_cndmask_b32_e64 v11, 0, -1, s2
	v_cmp_eq_u32_e64 s2, s21, v7
	s_delay_alu instid0(VALU_DEP_2) | instskip(SKIP_2) | instid1(VALU_DEP_3)
	v_cndmask_b32_e32 v6, v11, v10, vcc_lo
	v_cmp_le_u32_e32 vcc_lo, s21, v7
	v_cndmask_b32_e64 v10, 0, -1, vcc_lo
	v_cmp_ne_u32_e32 vcc_lo, 0, v6
	s_delay_alu instid0(VALU_DEP_2) | instskip(SKIP_1) | instid1(VALU_DEP_2)
	v_cndmask_b32_e64 v6, v10, v12, s2
	v_dual_cndmask_b32 v2, v2, v8 :: v_dual_cndmask_b32 v3, v3, v9
	v_cmp_ne_u32_e32 vcc_lo, 0, v6
	s_delay_alu instid0(VALU_DEP_2)
	v_dual_cndmask_b32 v4, v4, v2 :: v_dual_cndmask_b32 v5, v5, v3
                                        ; implicit-def: $vgpr2_vgpr3
.LBB11_7:
	s_and_not1_saveexec_b32 s2, s3
	s_cbranch_execz .LBB11_9
; %bb.8:
	v_cvt_f32_u32_e32 v3, s20
	s_sub_co_i32 s3, 0, s20
	s_delay_alu instid0(VALU_DEP_1) | instskip(SKIP_1) | instid1(TRANS32_DEP_1)
	v_rcp_iflag_f32_e32 v3, v3
	v_nop
	v_mul_f32_e32 v3, 0x4f7ffffe, v3
	s_delay_alu instid0(VALU_DEP_1) | instskip(NEXT) | instid1(VALU_DEP_1)
	v_cvt_u32_f32_e32 v3, v3
	v_mul_lo_u32 v4, s3, v3
	s_delay_alu instid0(VALU_DEP_1) | instskip(NEXT) | instid1(VALU_DEP_1)
	v_mul_hi_u32 v4, v3, v4
	v_add_nc_u32_e32 v3, v3, v4
	s_delay_alu instid0(VALU_DEP_1) | instskip(NEXT) | instid1(VALU_DEP_1)
	v_mul_hi_u32 v3, v2, v3
	v_mul_lo_u32 v4, v3, s20
	s_delay_alu instid0(VALU_DEP_1) | instskip(NEXT) | instid1(VALU_DEP_1)
	v_dual_sub_nc_u32 v2, v2, v4 :: v_dual_add_nc_u32 v4, 1, v3
	v_subrev_nc_u32_e32 v5, s20, v2
	v_cmp_le_u32_e32 vcc_lo, s20, v2
	s_delay_alu instid0(VALU_DEP_2) | instskip(NEXT) | instid1(VALU_DEP_4)
	v_dual_cndmask_b32 v2, v2, v5 :: v_dual_mov_b32 v5, 0
	v_cndmask_b32_e32 v3, v3, v4, vcc_lo
	s_delay_alu instid0(VALU_DEP_2) | instskip(NEXT) | instid1(VALU_DEP_2)
	v_cmp_le_u32_e32 vcc_lo, s20, v2
	v_add_nc_u32_e32 v4, 1, v3
	s_delay_alu instid0(VALU_DEP_1)
	v_cndmask_b32_e32 v4, v3, v4, vcc_lo
.LBB11_9:
	s_or_b32 exec_lo, exec_lo, s2
	s_delay_alu instid0(VALU_DEP_1) | instskip(SKIP_1) | instid1(VALU_DEP_1)
	v_dual_mov_b32 v6, 0 :: v_dual_bitop2_b32 v7, s17, v5 bitop3:0x54
                                        ; implicit-def: $vgpr2_vgpr3
	s_mov_b32 s2, exec_lo
	v_cmpx_ne_u64_e32 0, v[6:7]
	s_xor_b32 s3, exec_lo, s2
	s_cbranch_execz .LBB11_11
; %bb.10:
	s_cvt_f32_u32 s2, s16
	s_cvt_f32_u32 s26, s17
	s_sub_nc_u64 s[28:29], 0, s[16:17]
	s_mov_b32 s35, 0
	v_dual_mov_b32 v2, v4 :: v_dual_mov_b32 v3, v6
	s_fmamk_f32 s2, s26, 0x4f800000, s2
	v_dual_mov_b32 v8, v5 :: v_dual_mov_b32 v9, v6
	v_dual_mov_b32 v13, v6 :: v_dual_mov_b32 v7, v6
	s_delay_alu instid0(SALU_CYCLE_1) | instskip(NEXT) | instid1(TRANS32_DEP_1)
	v_s_rcp_f32 s2, s2
	s_mul_f32 s2, s2, 0x5f7ffffc
	s_delay_alu instid0(SALU_CYCLE_3) | instskip(NEXT) | instid1(SALU_CYCLE_3)
	s_mul_f32 s26, s2, 0x2f800000
	s_trunc_f32 s26, s26
	s_delay_alu instid0(SALU_CYCLE_3) | instskip(SKIP_1) | instid1(SALU_CYCLE_2)
	s_fmamk_f32 s2, s26, 0xcf800000, s2
	s_cvt_u32_f32 s27, s26
	s_cvt_u32_f32 s26, s2
	s_delay_alu instid0(SALU_CYCLE_3) | instskip(NEXT) | instid1(SALU_CYCLE_1)
	s_mul_u64 s[30:31], s[28:29], s[26:27]
	s_mul_hi_u32 s37, s26, s31
	s_mul_i32 s36, s26, s31
	s_mul_hi_u32 s34, s26, s30
	s_mul_i32 s33, s27, s30
	s_add_nc_u64 s[36:37], s[34:35], s[36:37]
	s_mul_hi_u32 s2, s27, s30
	s_mul_hi_u32 s38, s27, s31
	s_mul_i32 s30, s27, s31
	s_add_co_u32 s31, s36, s33
	s_add_co_ci_u32 s34, s37, s2
	s_add_co_ci_u32 s31, s38, 0
	s_delay_alu instid0(SALU_CYCLE_1) | instskip(NEXT) | instid1(SALU_CYCLE_1)
	s_add_nc_u64 s[30:31], s[34:35], s[30:31]
	s_add_co_u32 s26, s26, s30
	s_cselect_b32 s2, -1, 0
	s_delay_alu instid0(SALU_CYCLE_1) | instskip(SKIP_1) | instid1(SALU_CYCLE_1)
	s_cmp_lg_u32 s2, 0
	s_add_co_ci_u32 s27, s27, s31
	s_mul_u64 s[28:29], s[28:29], s[26:27]
	s_delay_alu instid0(SALU_CYCLE_1)
	s_mul_hi_u32 s31, s26, s29
	s_mul_i32 s30, s26, s29
	s_mul_hi_u32 s34, s26, s28
	s_mul_i32 s33, s27, s28
	s_add_nc_u64 s[30:31], s[34:35], s[30:31]
	s_mul_hi_u32 s2, s27, s28
	s_mul_hi_u32 s36, s27, s29
	s_mul_i32 s28, s27, s29
	s_add_co_u32 s29, s30, s33
	s_add_co_ci_u32 s34, s31, s2
	s_add_co_ci_u32 s29, s36, 0
	s_delay_alu instid0(SALU_CYCLE_1) | instskip(NEXT) | instid1(SALU_CYCLE_1)
	s_add_nc_u64 s[28:29], s[34:35], s[28:29]
	s_add_co_u32 s2, s26, s28
	s_cselect_b32 s26, -1, 0
	v_nop
	v_mul_hi_u32 v12, v4, s2
	s_cmp_lg_u32 s26, 0
	s_add_co_ci_u32 s34, s27, s29
	s_mov_b64 s[26:27], 0xffffffff
	v_mul_u64_e32 v[2:3], s[34:35], v[2:3]
	s_and_b64 s[26:27], s[2:3], s[26:27]
	s_delay_alu instid0(SALU_CYCLE_1) | instskip(SKIP_1) | instid1(VALU_DEP_3)
	v_mul_u64_e32 v[10:11], s[26:27], v[8:9]
	v_mul_u64_e32 v[8:9], s[34:35], v[8:9]
	v_add_nc_u64_e32 v[2:3], v[12:13], v[2:3]
	s_delay_alu instid0(VALU_DEP_1) | instskip(NEXT) | instid1(VALU_DEP_2)
	v_add_co_u32 v2, vcc_lo, v2, v10
	v_add_co_ci_u32_e32 v6, vcc_lo, v3, v11, vcc_lo
	s_delay_alu instid0(VALU_DEP_4) | instskip(NEXT) | instid1(VALU_DEP_1)
	v_add_co_ci_u32_e32 v9, vcc_lo, 0, v9, vcc_lo
	v_add_nc_u64_e32 v[2:3], v[6:7], v[8:9]
	s_delay_alu instid0(VALU_DEP_1) | instskip(NEXT) | instid1(VALU_DEP_1)
	v_mul_u64_e32 v[2:3], s[16:17], v[2:3]
	v_sub_nc_u32_e32 v6, v5, v3
	s_delay_alu instid0(VALU_DEP_2) | instskip(NEXT) | instid1(VALU_DEP_1)
	v_sub_co_u32 v2, vcc_lo, v4, v2
	v_sub_co_ci_u32_e64 v3, null, v5, v3, vcc_lo
	s_delay_alu instid0(VALU_DEP_3) | instskip(NEXT) | instid1(VALU_DEP_3)
	v_subrev_co_ci_u32_e64 v4, null, s17, v6, vcc_lo
	v_sub_co_u32 v5, vcc_lo, v2, s16
	v_cmp_le_u32_e64 s2, s16, v2
	s_delay_alu instid0(VALU_DEP_3) | instskip(SKIP_1) | instid1(VALU_DEP_3)
	v_subrev_co_ci_u32_e64 v6, null, 0, v4, vcc_lo
	v_subrev_co_ci_u32_e64 v4, null, s17, v4, vcc_lo
	v_cndmask_b32_e64 v7, 0, -1, s2
	v_cmp_le_u32_e64 s2, s16, v5
	v_cmp_le_u32_e32 vcc_lo, s17, v3
	s_delay_alu instid0(VALU_DEP_2) | instskip(SKIP_3) | instid1(VALU_DEP_3)
	v_cndmask_b32_e64 v8, 0, -1, s2
	v_cmp_le_u32_e64 s2, s17, v6
	v_cndmask_b32_e64 v10, 0, -1, vcc_lo
	v_cmp_eq_u32_e32 vcc_lo, s17, v6
	v_cndmask_b32_e64 v9, 0, -1, s2
	s_delay_alu instid0(VALU_DEP_1) | instskip(SKIP_1) | instid1(VALU_DEP_1)
	v_cndmask_b32_e32 v6, v9, v8, vcc_lo
	v_sub_co_u32 v8, vcc_lo, v5, s16
	v_subrev_co_ci_u32_e64 v4, null, 0, v4, vcc_lo
	v_cmp_eq_u32_e32 vcc_lo, s17, v3
	v_cndmask_b32_e32 v3, v10, v7, vcc_lo
	v_cmp_ne_u32_e32 vcc_lo, 0, v6
	v_cndmask_b32_e32 v4, v5, v8, vcc_lo
	s_delay_alu instid0(VALU_DEP_3) | instskip(NEXT) | instid1(VALU_DEP_2)
	v_cmp_ne_u32_e32 vcc_lo, 0, v3
	v_cndmask_b32_e32 v2, v2, v4, vcc_lo
                                        ; implicit-def: $vgpr4_vgpr5
.LBB11_11:
	s_and_not1_saveexec_b32 s2, s3
	s_cbranch_execz .LBB11_13
; %bb.12:
	v_cvt_f32_u32_e32 v2, s16
	s_sub_co_i32 s3, 0, s16
	s_delay_alu instid0(VALU_DEP_1) | instskip(SKIP_1) | instid1(TRANS32_DEP_1)
	v_rcp_iflag_f32_e32 v2, v2
	v_nop
	v_mul_f32_e32 v2, 0x4f7ffffe, v2
	s_delay_alu instid0(VALU_DEP_1) | instskip(NEXT) | instid1(VALU_DEP_1)
	v_cvt_u32_f32_e32 v2, v2
	v_mul_lo_u32 v3, s3, v2
	s_delay_alu instid0(VALU_DEP_1) | instskip(NEXT) | instid1(VALU_DEP_1)
	v_mul_hi_u32 v3, v2, v3
	v_add_nc_u32_e32 v2, v2, v3
	s_delay_alu instid0(VALU_DEP_1) | instskip(NEXT) | instid1(VALU_DEP_1)
	v_mul_hi_u32 v2, v4, v2
	v_mul_lo_u32 v2, v2, s16
	s_delay_alu instid0(VALU_DEP_1) | instskip(NEXT) | instid1(VALU_DEP_1)
	v_sub_nc_u32_e32 v2, v4, v2
	v_subrev_nc_u32_e32 v3, s16, v2
	v_cmp_le_u32_e32 vcc_lo, s16, v2
	s_delay_alu instid0(VALU_DEP_2) | instskip(NEXT) | instid1(VALU_DEP_1)
	v_cndmask_b32_e32 v2, v2, v3, vcc_lo
	v_subrev_nc_u32_e32 v3, s16, v2
	v_cmp_le_u32_e32 vcc_lo, s16, v2
	s_delay_alu instid0(VALU_DEP_2)
	v_cndmask_b32_e32 v2, v2, v3, vcc_lo
.LBB11_13:
	s_or_b32 exec_lo, exec_lo, s2
	v_dual_mov_b32 v6, 0 :: v_dual_bitop2_b32 v7, s21, v1 bitop3:0x54
                                        ; implicit-def: $vgpr4_vgpr5
	s_mov_b32 s2, exec_lo
	s_delay_alu instid0(VALU_DEP_1)
	v_cmpx_ne_u64_e32 0, v[6:7]
	s_xor_b32 s3, exec_lo, s2
	s_cbranch_execz .LBB11_15
; %bb.14:
	s_cvt_f32_u32 s2, s20
	s_cvt_f32_u32 s16, s21
	s_sub_nc_u64 s[26:27], 0, s[20:21]
	s_mov_b32 s31, 0
	v_dual_mov_b32 v4, v0 :: v_dual_mov_b32 v5, v6
	s_fmamk_f32 s2, s16, 0x4f800000, s2
	v_dual_mov_b32 v8, v1 :: v_dual_mov_b32 v9, v6
	v_dual_mov_b32 v13, v6 :: v_dual_mov_b32 v7, v6
	s_delay_alu instid0(SALU_CYCLE_1) | instskip(NEXT) | instid1(TRANS32_DEP_1)
	v_s_rcp_f32 s2, s2
	s_mul_f32 s2, s2, 0x5f7ffffc
	s_delay_alu instid0(SALU_CYCLE_3) | instskip(NEXT) | instid1(SALU_CYCLE_3)
	s_mul_f32 s16, s2, 0x2f800000
	s_trunc_f32 s16, s16
	s_delay_alu instid0(SALU_CYCLE_3) | instskip(SKIP_1) | instid1(SALU_CYCLE_2)
	s_fmamk_f32 s2, s16, 0xcf800000, s2
	s_cvt_u32_f32 s17, s16
	s_cvt_u32_f32 s16, s2
	s_delay_alu instid0(SALU_CYCLE_3) | instskip(NEXT) | instid1(SALU_CYCLE_1)
	s_mul_u64 s[28:29], s[26:27], s[16:17]
	s_mul_hi_u32 s35, s16, s29
	s_mul_i32 s34, s16, s29
	s_mul_hi_u32 s30, s16, s28
	s_mul_i32 s33, s17, s28
	s_add_nc_u64 s[34:35], s[30:31], s[34:35]
	s_mul_hi_u32 s2, s17, s28
	s_mul_hi_u32 s36, s17, s29
	s_mul_i32 s28, s17, s29
	s_add_co_u32 s29, s34, s33
	s_add_co_ci_u32 s30, s35, s2
	s_add_co_ci_u32 s29, s36, 0
	s_delay_alu instid0(SALU_CYCLE_1) | instskip(NEXT) | instid1(SALU_CYCLE_1)
	s_add_nc_u64 s[28:29], s[30:31], s[28:29]
	s_add_co_u32 s16, s16, s28
	s_cselect_b32 s2, -1, 0
	s_delay_alu instid0(SALU_CYCLE_1) | instskip(SKIP_1) | instid1(SALU_CYCLE_1)
	s_cmp_lg_u32 s2, 0
	s_add_co_ci_u32 s17, s17, s29
	s_mul_u64 s[26:27], s[26:27], s[16:17]
	s_delay_alu instid0(SALU_CYCLE_1)
	s_mul_hi_u32 s29, s16, s27
	s_mul_i32 s28, s16, s27
	s_mul_hi_u32 s30, s16, s26
	s_mul_i32 s33, s17, s26
	s_add_nc_u64 s[28:29], s[30:31], s[28:29]
	s_mul_hi_u32 s2, s17, s26
	s_mul_hi_u32 s34, s17, s27
	s_mul_i32 s26, s17, s27
	s_add_co_u32 s27, s28, s33
	s_add_co_ci_u32 s30, s29, s2
	s_add_co_ci_u32 s27, s34, 0
	s_delay_alu instid0(SALU_CYCLE_1) | instskip(NEXT) | instid1(SALU_CYCLE_1)
	s_add_nc_u64 s[26:27], s[30:31], s[26:27]
	s_add_co_u32 s2, s16, s26
	s_cselect_b32 s16, -1, 0
	v_nop
	v_mul_hi_u32 v12, v0, s2
	s_cmp_lg_u32 s16, 0
	s_add_co_ci_u32 s30, s17, s27
	s_mov_b64 s[16:17], 0xffffffff
	v_mul_u64_e32 v[4:5], s[30:31], v[4:5]
	s_and_b64 s[16:17], s[2:3], s[16:17]
	s_delay_alu instid0(SALU_CYCLE_1) | instskip(SKIP_1) | instid1(VALU_DEP_3)
	v_mul_u64_e32 v[10:11], s[16:17], v[8:9]
	v_mul_u64_e32 v[8:9], s[30:31], v[8:9]
	v_add_nc_u64_e32 v[4:5], v[12:13], v[4:5]
	s_delay_alu instid0(VALU_DEP_1) | instskip(NEXT) | instid1(VALU_DEP_2)
	v_add_co_u32 v3, vcc_lo, v4, v10
	v_add_co_ci_u32_e32 v6, vcc_lo, v5, v11, vcc_lo
	s_delay_alu instid0(VALU_DEP_4) | instskip(NEXT) | instid1(VALU_DEP_1)
	v_add_co_ci_u32_e32 v9, vcc_lo, 0, v9, vcc_lo
	v_add_nc_u64_e32 v[4:5], v[6:7], v[8:9]
	s_delay_alu instid0(VALU_DEP_1) | instskip(SKIP_1) | instid1(VALU_DEP_2)
	v_mul_u64_e32 v[6:7], s[20:21], v[4:5]
	v_add_nc_u64_e32 v[8:9], 2, v[4:5]
	v_sub_nc_u32_e32 v3, v1, v7
	s_delay_alu instid0(VALU_DEP_3) | instskip(NEXT) | instid1(VALU_DEP_1)
	v_sub_co_u32 v6, vcc_lo, v0, v6
	v_sub_co_ci_u32_e64 v12, null, v1, v7, vcc_lo
	s_delay_alu instid0(VALU_DEP_3) | instskip(NEXT) | instid1(VALU_DEP_3)
	v_subrev_co_ci_u32_e64 v3, null, s21, v3, vcc_lo
	v_sub_co_u32 v10, s2, v6, s20
	v_cmp_le_u32_e32 vcc_lo, s20, v6
	s_delay_alu instid0(VALU_DEP_3) | instskip(NEXT) | instid1(VALU_DEP_3)
	v_subrev_co_ci_u32_e64 v3, null, 0, v3, s2
	v_cmp_le_u32_e64 s2, s20, v10
	v_add_nc_u64_e32 v[6:7], 1, v[4:5]
	v_cndmask_b32_e64 v13, 0, -1, vcc_lo
	s_delay_alu instid0(VALU_DEP_4) | instskip(NEXT) | instid1(VALU_DEP_4)
	v_cmp_eq_u32_e32 vcc_lo, s21, v3
	v_cndmask_b32_e64 v10, 0, -1, s2
	v_cmp_le_u32_e64 s2, s21, v3
	s_delay_alu instid0(VALU_DEP_1) | instskip(SKIP_1) | instid1(VALU_DEP_2)
	v_cndmask_b32_e64 v11, 0, -1, s2
	v_cmp_eq_u32_e64 s2, s21, v12
	v_cndmask_b32_e32 v3, v11, v10, vcc_lo
	v_cmp_le_u32_e32 vcc_lo, s21, v12
	v_cndmask_b32_e64 v10, 0, -1, vcc_lo
	s_delay_alu instid0(VALU_DEP_3) | instskip(SKIP_1) | instid1(VALU_DEP_3)
	v_cmp_ne_u32_e32 vcc_lo, 0, v3
	v_cndmask_b32_e32 v7, v7, v9, vcc_lo
	v_cndmask_b32_e64 v3, v10, v13, s2
	v_cndmask_b32_e32 v6, v6, v8, vcc_lo
	s_delay_alu instid0(VALU_DEP_2) | instskip(NEXT) | instid1(VALU_DEP_2)
	v_cmp_ne_u32_e32 vcc_lo, 0, v3
	v_dual_cndmask_b32 v5, v5, v7 :: v_dual_cndmask_b32 v4, v4, v6
.LBB11_15:
	s_and_not1_saveexec_b32 s2, s3
	s_cbranch_execz .LBB11_17
; %bb.16:
	v_cvt_f32_u32_e32 v3, s20
	s_sub_co_i32 s3, 0, s20
	s_delay_alu instid0(VALU_DEP_1) | instskip(SKIP_1) | instid1(TRANS32_DEP_1)
	v_rcp_iflag_f32_e32 v3, v3
	v_nop
	v_mul_f32_e32 v3, 0x4f7ffffe, v3
	s_delay_alu instid0(VALU_DEP_1) | instskip(NEXT) | instid1(VALU_DEP_1)
	v_cvt_u32_f32_e32 v3, v3
	v_mul_lo_u32 v4, s3, v3
	s_delay_alu instid0(VALU_DEP_1) | instskip(NEXT) | instid1(VALU_DEP_1)
	v_mul_hi_u32 v4, v3, v4
	v_add_nc_u32_e32 v3, v3, v4
	s_delay_alu instid0(VALU_DEP_1) | instskip(NEXT) | instid1(VALU_DEP_1)
	v_mul_hi_u32 v3, v0, v3
	v_mul_lo_u32 v4, v3, s20
	s_delay_alu instid0(VALU_DEP_1) | instskip(NEXT) | instid1(VALU_DEP_1)
	v_dual_add_nc_u32 v5, 1, v3 :: v_dual_sub_nc_u32 v4, v0, v4
	v_subrev_nc_u32_e32 v6, s20, v4
	v_cmp_le_u32_e32 vcc_lo, s20, v4
	s_delay_alu instid0(VALU_DEP_2) | instskip(NEXT) | instid1(VALU_DEP_1)
	v_dual_cndmask_b32 v4, v4, v6 :: v_dual_cndmask_b32 v3, v3, v5
	v_cmp_le_u32_e32 vcc_lo, s20, v4
	s_delay_alu instid0(VALU_DEP_2) | instskip(NEXT) | instid1(VALU_DEP_1)
	v_add_nc_u32_e32 v5, 1, v3
	v_dual_cndmask_b32 v4, v3, v5 :: v_dual_mov_b32 v5, 0
.LBB11_17:
	s_or_b32 exec_lo, exec_lo, s2
	s_delay_alu instid0(VALU_DEP_1) | instskip(SKIP_1) | instid1(VALU_DEP_1)
	v_dual_mov_b32 v8, 0 :: v_dual_bitop2_b32 v9, s19, v5 bitop3:0x54
                                        ; implicit-def: $vgpr6_vgpr7
	s_mov_b32 s2, exec_lo
	v_cmpx_ne_u64_e32 0, v[8:9]
	s_xor_b32 s3, exec_lo, s2
	s_cbranch_execnz .LBB11_20
; %bb.18:
	s_and_not1_saveexec_b32 s2, s3
	s_cbranch_execnz .LBB11_21
.LBB11_19:
	s_or_b32 exec_lo, exec_lo, s2
	s_cmp_eq_u64 s[6:7], 0
	s_cbranch_scc0 .LBB11_22
	s_branch .LBB11_44
.LBB11_20:
	s_cvt_f32_u32 s2, s18
	s_cvt_f32_u32 s16, s19
	s_sub_nc_u64 s[26:27], 0, s[18:19]
	s_mov_b32 s31, 0
	v_dual_mov_b32 v6, v4 :: v_dual_mov_b32 v7, v8
	s_fmamk_f32 s2, s16, 0x4f800000, s2
	v_dual_mov_b32 v10, v5 :: v_dual_mov_b32 v11, v8
	v_dual_mov_b32 v15, v8 :: v_dual_mov_b32 v9, v8
	s_delay_alu instid0(SALU_CYCLE_1) | instskip(NEXT) | instid1(TRANS32_DEP_1)
	v_s_rcp_f32 s2, s2
	s_mul_f32 s2, s2, 0x5f7ffffc
	s_delay_alu instid0(SALU_CYCLE_3) | instskip(NEXT) | instid1(SALU_CYCLE_3)
	s_mul_f32 s16, s2, 0x2f800000
	s_trunc_f32 s16, s16
	s_delay_alu instid0(SALU_CYCLE_3) | instskip(SKIP_1) | instid1(SALU_CYCLE_2)
	s_fmamk_f32 s2, s16, 0xcf800000, s2
	s_cvt_u32_f32 s17, s16
	s_cvt_u32_f32 s16, s2
	s_delay_alu instid0(SALU_CYCLE_3) | instskip(NEXT) | instid1(SALU_CYCLE_1)
	s_mul_u64 s[28:29], s[26:27], s[16:17]
	s_mul_hi_u32 s35, s16, s29
	s_mul_i32 s34, s16, s29
	s_mul_hi_u32 s30, s16, s28
	s_mul_i32 s33, s17, s28
	s_add_nc_u64 s[34:35], s[30:31], s[34:35]
	s_mul_hi_u32 s2, s17, s28
	s_mul_hi_u32 s36, s17, s29
	s_mul_i32 s28, s17, s29
	s_add_co_u32 s29, s34, s33
	s_add_co_ci_u32 s30, s35, s2
	s_add_co_ci_u32 s29, s36, 0
	s_delay_alu instid0(SALU_CYCLE_1) | instskip(NEXT) | instid1(SALU_CYCLE_1)
	s_add_nc_u64 s[28:29], s[30:31], s[28:29]
	s_add_co_u32 s16, s16, s28
	s_cselect_b32 s2, -1, 0
	s_delay_alu instid0(SALU_CYCLE_1) | instskip(SKIP_1) | instid1(SALU_CYCLE_1)
	s_cmp_lg_u32 s2, 0
	s_add_co_ci_u32 s17, s17, s29
	s_mul_u64 s[26:27], s[26:27], s[16:17]
	s_delay_alu instid0(SALU_CYCLE_1)
	s_mul_hi_u32 s29, s16, s27
	s_mul_i32 s28, s16, s27
	s_mul_hi_u32 s30, s16, s26
	s_mul_i32 s33, s17, s26
	s_add_nc_u64 s[28:29], s[30:31], s[28:29]
	s_mul_hi_u32 s2, s17, s26
	s_mul_hi_u32 s34, s17, s27
	s_mul_i32 s26, s17, s27
	s_add_co_u32 s27, s28, s33
	s_add_co_ci_u32 s30, s29, s2
	s_add_co_ci_u32 s27, s34, 0
	s_delay_alu instid0(SALU_CYCLE_1) | instskip(NEXT) | instid1(SALU_CYCLE_1)
	s_add_nc_u64 s[26:27], s[30:31], s[26:27]
	s_add_co_u32 s2, s16, s26
	s_cselect_b32 s16, -1, 0
	v_nop
	v_mul_hi_u32 v14, v4, s2
	s_cmp_lg_u32 s16, 0
	s_add_co_ci_u32 s30, s17, s27
	s_mov_b64 s[16:17], 0xffffffff
	v_mul_u64_e32 v[6:7], s[30:31], v[6:7]
	s_and_b64 s[16:17], s[2:3], s[16:17]
	s_delay_alu instid0(SALU_CYCLE_1) | instskip(SKIP_1) | instid1(VALU_DEP_3)
	v_mul_u64_e32 v[12:13], s[16:17], v[10:11]
	v_mul_u64_e32 v[10:11], s[30:31], v[10:11]
	v_add_nc_u64_e32 v[6:7], v[14:15], v[6:7]
	s_delay_alu instid0(VALU_DEP_1) | instskip(NEXT) | instid1(VALU_DEP_2)
	v_add_co_u32 v3, vcc_lo, v6, v12
	v_add_co_ci_u32_e32 v8, vcc_lo, v7, v13, vcc_lo
	s_delay_alu instid0(VALU_DEP_4) | instskip(NEXT) | instid1(VALU_DEP_1)
	v_add_co_ci_u32_e32 v11, vcc_lo, 0, v11, vcc_lo
	v_add_nc_u64_e32 v[6:7], v[8:9], v[10:11]
	s_delay_alu instid0(VALU_DEP_1) | instskip(NEXT) | instid1(VALU_DEP_1)
	v_mul_u64_e32 v[6:7], s[18:19], v[6:7]
	v_sub_nc_u32_e32 v3, v5, v7
	s_delay_alu instid0(VALU_DEP_2) | instskip(NEXT) | instid1(VALU_DEP_1)
	v_sub_co_u32 v6, vcc_lo, v4, v6
	v_sub_co_ci_u32_e64 v5, null, v5, v7, vcc_lo
	s_delay_alu instid0(VALU_DEP_3) | instskip(NEXT) | instid1(VALU_DEP_3)
	v_subrev_co_ci_u32_e64 v3, null, s19, v3, vcc_lo
	v_sub_co_u32 v7, vcc_lo, v6, s18
	v_cmp_le_u32_e64 s2, s18, v6
	s_delay_alu instid0(VALU_DEP_3) | instskip(SKIP_1) | instid1(VALU_DEP_3)
	v_subrev_co_ci_u32_e64 v8, null, 0, v3, vcc_lo
	v_subrev_co_ci_u32_e64 v3, null, s19, v3, vcc_lo
	v_cndmask_b32_e64 v9, 0, -1, s2
	v_cmp_le_u32_e64 s2, s18, v7
	v_cmp_le_u32_e32 vcc_lo, s19, v5
	s_delay_alu instid0(VALU_DEP_2) | instskip(SKIP_3) | instid1(VALU_DEP_3)
	v_cndmask_b32_e64 v10, 0, -1, s2
	v_cmp_le_u32_e64 s2, s19, v8
	v_cndmask_b32_e64 v12, 0, -1, vcc_lo
	v_cmp_eq_u32_e32 vcc_lo, s19, v8
	v_cndmask_b32_e64 v11, 0, -1, s2
	s_delay_alu instid0(VALU_DEP_1) | instskip(SKIP_1) | instid1(VALU_DEP_1)
	v_cndmask_b32_e32 v8, v11, v10, vcc_lo
	v_sub_co_u32 v10, vcc_lo, v7, s18
	v_subrev_co_ci_u32_e64 v3, null, 0, v3, vcc_lo
	v_cmp_eq_u32_e32 vcc_lo, s19, v5
	v_cndmask_b32_e32 v3, v12, v9, vcc_lo
	v_cmp_ne_u32_e32 vcc_lo, 0, v8
	v_cndmask_b32_e32 v5, v7, v10, vcc_lo
	s_delay_alu instid0(VALU_DEP_3) | instskip(NEXT) | instid1(VALU_DEP_2)
	v_cmp_ne_u32_e32 vcc_lo, 0, v3
	v_cndmask_b32_e32 v6, v6, v5, vcc_lo
	s_and_not1_saveexec_b32 s2, s3
	s_cbranch_execz .LBB11_19
.LBB11_21:
	v_cvt_f32_u32_e32 v3, s18
	s_sub_co_i32 s3, 0, s18
	s_delay_alu instid0(VALU_DEP_1) | instskip(SKIP_1) | instid1(TRANS32_DEP_1)
	v_rcp_iflag_f32_e32 v3, v3
	v_nop
	v_mul_f32_e32 v3, 0x4f7ffffe, v3
	s_delay_alu instid0(VALU_DEP_1) | instskip(NEXT) | instid1(VALU_DEP_1)
	v_cvt_u32_f32_e32 v3, v3
	v_mul_lo_u32 v5, s3, v3
	s_delay_alu instid0(VALU_DEP_1) | instskip(NEXT) | instid1(VALU_DEP_1)
	v_mul_hi_u32 v5, v3, v5
	v_add_nc_u32_e32 v3, v3, v5
	s_delay_alu instid0(VALU_DEP_1) | instskip(NEXT) | instid1(VALU_DEP_1)
	v_mul_hi_u32 v3, v4, v3
	v_mul_lo_u32 v3, v3, s18
	s_delay_alu instid0(VALU_DEP_1) | instskip(NEXT) | instid1(VALU_DEP_1)
	v_sub_nc_u32_e32 v3, v4, v3
	v_subrev_nc_u32_e32 v5, s18, v3
	v_cmp_le_u32_e32 vcc_lo, s18, v3
	s_delay_alu instid0(VALU_DEP_2) | instskip(NEXT) | instid1(VALU_DEP_1)
	v_cndmask_b32_e32 v3, v3, v5, vcc_lo
	v_subrev_nc_u32_e32 v5, s18, v3
	v_cmp_le_u32_e32 vcc_lo, s18, v3
	s_delay_alu instid0(VALU_DEP_2)
	v_cndmask_b32_e32 v6, v3, v5, vcc_lo
	s_or_b32 exec_lo, exec_lo, s2
	s_cmp_eq_u64 s[6:7], 0
	s_cbranch_scc1 .LBB11_44
.LBB11_22:
	s_mul_u64 s[16:17], s[24:25], s[20:21]
                                        ; implicit-def: $vgpr10_vgpr11
	s_mov_b32 s2, exec_lo
	v_dual_mov_b32 v8, 0 :: v_dual_bitop2_b32 v9, s17, v1 bitop3:0x54
	s_delay_alu instid0(VALU_DEP_1)
	v_cmpx_ne_u64_e32 0, v[8:9]
	s_xor_b32 s3, exec_lo, s2
	s_cbranch_execz .LBB11_24
; %bb.23:
	s_ashr_i32 s18, s17, 31
	s_mov_b32 s35, 0
	s_mov_b32 s19, s18
	v_dual_mov_b32 v15, v8 :: v_dual_ashrrev_i32 v10, 31, v1
	s_add_nc_u64 s[24:25], s[16:17], s[18:19]
	v_dual_mov_b32 v23, v8 :: v_dual_mov_b32 v9, v8
	s_xor_b64 s[24:25], s[24:25], s[18:19]
	s_delay_alu instid0(VALU_DEP_2) | instskip(SKIP_3) | instid1(VALU_DEP_1)
	v_mov_b32_e32 v11, v10
	s_cvt_f32_u32 s2, s24
	s_cvt_f32_u32 s19, s25
	s_sub_nc_u64 s[28:29], 0, s[24:25]
	v_add_nc_u64_e32 v[12:13], v[0:1], v[10:11]
	s_delay_alu instid0(SALU_CYCLE_1) | instskip(SKIP_1) | instid1(SALU_CYCLE_2)
	s_fmamk_f32 s2, s19, 0x4f800000, s2
	v_mov_b32_e32 v17, v8
	v_s_rcp_f32 s2, s2
	s_delay_alu instid0(VALU_DEP_2) | instskip(NEXT) | instid1(VALU_DEP_3)
	v_xor_b32_e32 v14, v12, v10
	v_xor_b32_e32 v16, v13, v10
	;; [unrolled: 1-line block ×3, first 2 shown]
	s_delay_alu instid0(TRANS32_DEP_1) | instskip(NEXT) | instid1(SALU_CYCLE_3)
	s_mul_f32 s2, s2, 0x5f7ffffc
	s_mul_f32 s19, s2, 0x2f800000
	s_delay_alu instid0(SALU_CYCLE_3) | instskip(NEXT) | instid1(SALU_CYCLE_3)
	s_trunc_f32 s19, s19
	s_fmamk_f32 s2, s19, 0xcf800000, s2
	s_cvt_u32_f32 s27, s19
	s_delay_alu instid0(SALU_CYCLE_2) | instskip(NEXT) | instid1(SALU_CYCLE_3)
	s_cvt_u32_f32 s26, s2
	s_mul_u64 s[30:31], s[28:29], s[26:27]
	s_delay_alu instid0(SALU_CYCLE_1)
	s_mul_hi_u32 s37, s26, s31
	s_mul_i32 s36, s26, s31
	s_mul_hi_u32 s34, s26, s30
	s_mul_i32 s19, s27, s30
	s_add_nc_u64 s[36:37], s[34:35], s[36:37]
	s_mul_hi_u32 s2, s27, s30
	s_mul_hi_u32 s21, s27, s31
	s_add_co_u32 s19, s36, s19
	s_add_co_ci_u32 s34, s37, s2
	s_mul_i32 s30, s27, s31
	s_add_co_ci_u32 s31, s21, 0
	s_delay_alu instid0(SALU_CYCLE_1) | instskip(NEXT) | instid1(SALU_CYCLE_1)
	s_add_nc_u64 s[30:31], s[34:35], s[30:31]
	s_add_co_u32 s26, s26, s30
	s_cselect_b32 s2, -1, 0
	s_delay_alu instid0(SALU_CYCLE_1) | instskip(SKIP_1) | instid1(SALU_CYCLE_1)
	s_cmp_lg_u32 s2, 0
	s_add_co_ci_u32 s27, s27, s31
	s_mul_u64 s[28:29], s[28:29], s[26:27]
	s_delay_alu instid0(SALU_CYCLE_1)
	s_mul_hi_u32 s31, s26, s29
	s_mul_i32 s30, s26, s29
	s_mul_hi_u32 s34, s26, s28
	s_mul_i32 s19, s27, s28
	s_add_nc_u64 s[30:31], s[34:35], s[30:31]
	s_mul_hi_u32 s2, s27, s28
	s_mul_hi_u32 s21, s27, s29
	s_add_co_u32 s19, s30, s19
	s_add_co_ci_u32 s34, s31, s2
	s_mul_i32 s28, s27, s29
	s_add_co_ci_u32 s29, s21, 0
	s_delay_alu instid0(SALU_CYCLE_1) | instskip(NEXT) | instid1(SALU_CYCLE_1)
	s_add_nc_u64 s[28:29], s[34:35], s[28:29]
	s_add_co_u32 s2, s26, s28
	s_cselect_b32 s19, -1, 0
	v_mul_hi_u32 v22, v14, s2
	s_cmp_lg_u32 s19, 0
	s_add_co_ci_u32 s34, s27, s29
	s_mov_b64 s[26:27], 0xffffffff
	v_mul_u64_e32 v[18:19], s[34:35], v[14:15]
	s_and_b64 s[26:27], s[2:3], s[26:27]
	v_mul_u64_e32 v[20:21], s[34:35], v[16:17]
	v_mul_u64_e32 v[12:13], s[26:27], v[16:17]
	s_delay_alu instid0(VALU_DEP_3) | instskip(NEXT) | instid1(VALU_DEP_1)
	v_add_nc_u64_e32 v[18:19], v[22:23], v[18:19]
	v_add_co_u32 v3, vcc_lo, v18, v12
	s_delay_alu instid0(VALU_DEP_2) | instskip(SKIP_1) | instid1(VALU_DEP_1)
	v_add_co_ci_u32_e32 v8, vcc_lo, v19, v13, vcc_lo
	v_add_co_ci_u32_e32 v21, vcc_lo, 0, v21, vcc_lo
	v_add_nc_u64_e32 v[8:9], v[8:9], v[20:21]
	s_delay_alu instid0(VALU_DEP_1) | instskip(NEXT) | instid1(VALU_DEP_1)
	v_mul_u64_e32 v[12:13], s[24:25], v[8:9]
	v_sub_co_u32 v5, vcc_lo, v14, v12
	v_add_nc_u64_e32 v[14:15], 1, v[8:9]
	s_delay_alu instid0(VALU_DEP_3) | instskip(SKIP_1) | instid1(VALU_DEP_4)
	v_sub_nc_u32_e32 v3, v16, v13
	v_sub_co_ci_u32_e64 v11, null, v16, v13, vcc_lo
	v_sub_co_u32 v7, s2, v5, s24
	s_delay_alu instid0(VALU_DEP_3) | instskip(NEXT) | instid1(VALU_DEP_2)
	v_subrev_co_ci_u32_e64 v3, null, s25, v3, vcc_lo
	v_cmp_le_u32_e32 vcc_lo, s24, v7
	s_delay_alu instid0(VALU_DEP_2) | instskip(SKIP_1) | instid1(VALU_DEP_2)
	v_subrev_co_ci_u32_e64 v3, null, 0, v3, s2
	v_cndmask_b32_e64 v7, 0, -1, vcc_lo
	v_cmp_le_u32_e32 vcc_lo, s25, v3
	v_cndmask_b32_e64 v12, 0, -1, vcc_lo
	v_cmp_le_u32_e32 vcc_lo, s24, v5
	;; [unrolled: 2-line block ×3, first 2 shown]
	v_cndmask_b32_e64 v16, 0, -1, vcc_lo
	v_cmp_eq_u32_e32 vcc_lo, s25, v3
	v_cndmask_b32_e32 v3, v12, v7, vcc_lo
	v_cmp_eq_u32_e32 vcc_lo, s25, v11
	v_add_nc_u64_e32 v[12:13], 2, v[8:9]
	v_dual_mov_b32 v11, v10 :: v_dual_cndmask_b32 v5, v16, v5, vcc_lo
	s_delay_alu instid0(VALU_DEP_4) | instskip(NEXT) | instid1(VALU_DEP_2)
	v_cmp_ne_u32_e32 vcc_lo, 0, v3
	v_cmp_ne_u32_e64 s2, 0, v5
	s_delay_alu instid0(VALU_DEP_4) | instskip(NEXT) | instid1(VALU_DEP_1)
	v_dual_cndmask_b32 v3, v15, v13, vcc_lo :: v_dual_cndmask_b32 v5, v14, v12, vcc_lo
	v_dual_cndmask_b32 v3, v9, v3, s2 :: v_dual_cndmask_b32 v5, v8, v5, s2
	s_delay_alu instid0(VALU_DEP_1) | instskip(NEXT) | instid1(VALU_DEP_2)
	v_xor_b32_e32 v9, v3, v10
	v_xor_b32_e32 v8, v5, v10
	s_delay_alu instid0(VALU_DEP_1)
	v_sub_nc_u64_e32 v[10:11], v[8:9], v[10:11]
.LBB11_24:
	s_and_not1_saveexec_b32 s2, s3
	s_cbranch_execz .LBB11_26
; %bb.25:
	v_cvt_f32_u32_e32 v3, s16
	s_sub_co_i32 s3, 0, s16
	v_mov_b32_e32 v11, 0
	s_delay_alu instid0(VALU_DEP_2) | instskip(SKIP_1) | instid1(TRANS32_DEP_1)
	v_rcp_iflag_f32_e32 v3, v3
	v_nop
	v_mul_f32_e32 v3, 0x4f7ffffe, v3
	s_delay_alu instid0(VALU_DEP_1) | instskip(NEXT) | instid1(VALU_DEP_1)
	v_cvt_u32_f32_e32 v3, v3
	v_mul_lo_u32 v5, s3, v3
	s_delay_alu instid0(VALU_DEP_1) | instskip(NEXT) | instid1(VALU_DEP_1)
	v_mul_hi_u32 v5, v3, v5
	v_add_nc_u32_e32 v3, v3, v5
	s_delay_alu instid0(VALU_DEP_1) | instskip(NEXT) | instid1(VALU_DEP_1)
	v_mul_hi_u32 v3, v0, v3
	v_mul_lo_u32 v5, v3, s16
	s_delay_alu instid0(VALU_DEP_1) | instskip(NEXT) | instid1(VALU_DEP_1)
	v_sub_nc_u32_e32 v5, v0, v5
	v_subrev_nc_u32_e32 v8, s16, v5
	v_cmp_le_u32_e32 vcc_lo, s16, v5
	s_delay_alu instid0(VALU_DEP_2) | instskip(NEXT) | instid1(VALU_DEP_1)
	v_dual_add_nc_u32 v7, 1, v3 :: v_dual_cndmask_b32 v5, v5, v8, vcc_lo
	v_cndmask_b32_e32 v3, v3, v7, vcc_lo
	s_delay_alu instid0(VALU_DEP_2) | instskip(NEXT) | instid1(VALU_DEP_2)
	v_cmp_le_u32_e32 vcc_lo, s16, v5
	v_add_nc_u32_e32 v7, 1, v3
	s_delay_alu instid0(VALU_DEP_1)
	v_cndmask_b32_e32 v10, v3, v7, vcc_lo
.LBB11_26:
	s_or_b32 exec_lo, exec_lo, s2
	s_delay_alu instid0(VALU_DEP_1) | instskip(SKIP_1) | instid1(VALU_DEP_1)
	v_dual_mov_b32 v12, 0 :: v_dual_bitop2_b32 v13, s9, v11 bitop3:0x54
                                        ; implicit-def: $vgpr8_vgpr9
	s_mov_b32 s2, exec_lo
	v_cmpx_ne_u64_e32 0, v[12:13]
	s_xor_b32 s3, exec_lo, s2
	s_cbranch_execz .LBB11_28
; %bb.27:
	s_cvt_f32_u32 s2, s8
	s_cvt_f32_u32 s18, s9
	s_sub_nc_u64 s[24:25], 0, s[8:9]
	s_mov_b32 s29, 0
	v_dual_mov_b32 v8, v10 :: v_dual_mov_b32 v9, v12
	s_fmamk_f32 s2, s18, 0x4f800000, s2
	v_dual_mov_b32 v14, v11 :: v_dual_mov_b32 v15, v12
	v_dual_mov_b32 v19, v12 :: v_dual_mov_b32 v13, v12
	s_delay_alu instid0(SALU_CYCLE_1) | instskip(NEXT) | instid1(TRANS32_DEP_1)
	v_s_rcp_f32 s2, s2
	s_mul_f32 s2, s2, 0x5f7ffffc
	s_delay_alu instid0(SALU_CYCLE_3) | instskip(NEXT) | instid1(SALU_CYCLE_3)
	s_mul_f32 s18, s2, 0x2f800000
	s_trunc_f32 s18, s18
	s_delay_alu instid0(SALU_CYCLE_3) | instskip(SKIP_1) | instid1(SALU_CYCLE_2)
	s_fmamk_f32 s2, s18, 0xcf800000, s2
	s_cvt_u32_f32 s19, s18
	s_cvt_u32_f32 s18, s2
	s_delay_alu instid0(SALU_CYCLE_3) | instskip(NEXT) | instid1(SALU_CYCLE_1)
	s_mul_u64 s[26:27], s[24:25], s[18:19]
	s_mul_hi_u32 s31, s18, s27
	s_mul_i32 s30, s18, s27
	s_mul_hi_u32 s28, s18, s26
	s_mul_i32 s21, s19, s26
	s_add_nc_u64 s[30:31], s[28:29], s[30:31]
	s_mul_hi_u32 s2, s19, s26
	s_mul_hi_u32 s33, s19, s27
	s_add_co_u32 s21, s30, s21
	s_add_co_ci_u32 s28, s31, s2
	s_mul_i32 s26, s19, s27
	s_add_co_ci_u32 s27, s33, 0
	s_delay_alu instid0(SALU_CYCLE_1) | instskip(NEXT) | instid1(SALU_CYCLE_1)
	s_add_nc_u64 s[26:27], s[28:29], s[26:27]
	s_add_co_u32 s18, s18, s26
	s_cselect_b32 s2, -1, 0
	s_delay_alu instid0(SALU_CYCLE_1) | instskip(SKIP_1) | instid1(SALU_CYCLE_1)
	s_cmp_lg_u32 s2, 0
	s_add_co_ci_u32 s19, s19, s27
	s_mul_u64 s[24:25], s[24:25], s[18:19]
	s_delay_alu instid0(SALU_CYCLE_1)
	s_mul_hi_u32 s27, s18, s25
	s_mul_i32 s26, s18, s25
	s_mul_hi_u32 s28, s18, s24
	s_mul_i32 s21, s19, s24
	s_add_nc_u64 s[26:27], s[28:29], s[26:27]
	s_mul_hi_u32 s2, s19, s24
	s_mul_hi_u32 s30, s19, s25
	s_add_co_u32 s21, s26, s21
	s_add_co_ci_u32 s28, s27, s2
	s_mul_i32 s24, s19, s25
	s_add_co_ci_u32 s25, s30, 0
	s_delay_alu instid0(SALU_CYCLE_1) | instskip(NEXT) | instid1(SALU_CYCLE_1)
	s_add_nc_u64 s[24:25], s[28:29], s[24:25]
	s_add_co_u32 s2, s18, s24
	s_cselect_b32 s18, -1, 0
	v_nop
	v_mul_hi_u32 v18, v10, s2
	s_cmp_lg_u32 s18, 0
	s_add_co_ci_u32 s28, s19, s25
	s_mov_b64 s[18:19], 0xffffffff
	v_mul_u64_e32 v[8:9], s[28:29], v[8:9]
	s_and_b64 s[18:19], s[2:3], s[18:19]
	s_delay_alu instid0(SALU_CYCLE_1) | instskip(SKIP_1) | instid1(VALU_DEP_3)
	v_mul_u64_e32 v[16:17], s[18:19], v[14:15]
	v_mul_u64_e32 v[14:15], s[28:29], v[14:15]
	v_add_nc_u64_e32 v[8:9], v[18:19], v[8:9]
	s_delay_alu instid0(VALU_DEP_1) | instskip(NEXT) | instid1(VALU_DEP_2)
	v_add_co_u32 v3, vcc_lo, v8, v16
	v_add_co_ci_u32_e32 v12, vcc_lo, v9, v17, vcc_lo
	s_delay_alu instid0(VALU_DEP_4) | instskip(NEXT) | instid1(VALU_DEP_1)
	v_add_co_ci_u32_e32 v15, vcc_lo, 0, v15, vcc_lo
	v_add_nc_u64_e32 v[8:9], v[12:13], v[14:15]
	s_delay_alu instid0(VALU_DEP_1) | instskip(NEXT) | instid1(VALU_DEP_1)
	v_mul_u64_e32 v[8:9], s[8:9], v[8:9]
	v_sub_nc_u32_e32 v3, v11, v9
	s_delay_alu instid0(VALU_DEP_2) | instskip(NEXT) | instid1(VALU_DEP_1)
	v_sub_co_u32 v5, vcc_lo, v10, v8
	v_sub_co_ci_u32_e64 v7, null, v11, v9, vcc_lo
	s_delay_alu instid0(VALU_DEP_3) | instskip(NEXT) | instid1(VALU_DEP_3)
	v_subrev_co_ci_u32_e64 v3, null, s9, v3, vcc_lo
	v_sub_co_u32 v8, vcc_lo, v5, s8
	v_cmp_le_u32_e64 s2, s8, v5
	s_delay_alu instid0(VALU_DEP_3) | instskip(SKIP_1) | instid1(VALU_DEP_3)
	v_subrev_co_ci_u32_e64 v9, null, 0, v3, vcc_lo
	v_subrev_co_ci_u32_e64 v3, null, s9, v3, vcc_lo
	v_cndmask_b32_e64 v10, 0, -1, s2
	v_cmp_le_u32_e64 s2, s8, v8
	v_cmp_le_u32_e32 vcc_lo, s9, v7
	s_delay_alu instid0(VALU_DEP_2) | instskip(SKIP_3) | instid1(VALU_DEP_3)
	v_cndmask_b32_e64 v11, 0, -1, s2
	v_cmp_le_u32_e64 s2, s9, v9
	v_cndmask_b32_e64 v13, 0, -1, vcc_lo
	v_cmp_eq_u32_e32 vcc_lo, s9, v9
	v_cndmask_b32_e64 v12, 0, -1, s2
	s_delay_alu instid0(VALU_DEP_1) | instskip(SKIP_1) | instid1(VALU_DEP_1)
	v_cndmask_b32_e32 v9, v12, v11, vcc_lo
	v_sub_co_u32 v11, vcc_lo, v8, s8
	v_subrev_co_ci_u32_e64 v3, null, 0, v3, vcc_lo
	v_cmp_eq_u32_e32 vcc_lo, s9, v7
	v_cndmask_b32_e32 v3, v13, v10, vcc_lo
	v_cmp_ne_u32_e32 vcc_lo, 0, v9
	v_cndmask_b32_e32 v7, v8, v11, vcc_lo
	s_delay_alu instid0(VALU_DEP_3) | instskip(NEXT) | instid1(VALU_DEP_2)
	v_cmp_ne_u32_e32 vcc_lo, 0, v3
                                        ; implicit-def: $vgpr10_vgpr11
	v_cndmask_b32_e32 v8, v5, v7, vcc_lo
.LBB11_28:
	s_and_not1_saveexec_b32 s2, s3
	s_cbranch_execz .LBB11_30
; %bb.29:
	v_cvt_f32_u32_e32 v3, s8
	s_sub_co_i32 s3, 0, s8
	s_delay_alu instid0(VALU_DEP_1) | instskip(SKIP_1) | instid1(TRANS32_DEP_1)
	v_rcp_iflag_f32_e32 v3, v3
	v_nop
	v_mul_f32_e32 v3, 0x4f7ffffe, v3
	s_delay_alu instid0(VALU_DEP_1) | instskip(NEXT) | instid1(VALU_DEP_1)
	v_cvt_u32_f32_e32 v3, v3
	v_mul_lo_u32 v5, s3, v3
	s_delay_alu instid0(VALU_DEP_1) | instskip(NEXT) | instid1(VALU_DEP_1)
	v_mul_hi_u32 v5, v3, v5
	v_add_nc_u32_e32 v3, v3, v5
	s_delay_alu instid0(VALU_DEP_1) | instskip(NEXT) | instid1(VALU_DEP_1)
	v_mul_hi_u32 v3, v10, v3
	v_mul_lo_u32 v3, v3, s8
	s_delay_alu instid0(VALU_DEP_1) | instskip(NEXT) | instid1(VALU_DEP_1)
	v_sub_nc_u32_e32 v3, v10, v3
	v_subrev_nc_u32_e32 v5, s8, v3
	v_cmp_le_u32_e32 vcc_lo, s8, v3
	s_delay_alu instid0(VALU_DEP_2) | instskip(NEXT) | instid1(VALU_DEP_1)
	v_cndmask_b32_e32 v3, v3, v5, vcc_lo
	v_subrev_nc_u32_e32 v5, s8, v3
	v_cmp_le_u32_e32 vcc_lo, s8, v3
	s_delay_alu instid0(VALU_DEP_2)
	v_cndmask_b32_e32 v8, v3, v5, vcc_lo
.LBB11_30:
	s_or_b32 exec_lo, exec_lo, s2
	v_mul_lo_u32 v3, v4, s20
	s_load_b96 s[0:2], s[0:1], 0x50
	v_add_nc_u32_e32 v4, 1, v6
	v_cvt_f32_i32_e32 v6, v6
	s_mul_u64 s[18:19], s[14:15], s[12:13]
	s_delay_alu instid0(VALU_DEP_3) | instskip(SKIP_3) | instid1(VALU_DEP_4)
	v_dual_ashrrev_i32 v9, 31, v8 :: v_dual_sub_nc_u32 v3, v0, v3
	v_add_nc_u32_e32 v5, 1, v2
	v_cvt_f32_i32_e32 v2, v2
	v_cvt_f32_i32_e32 v4, v4
	v_add_nc_u32_e32 v7, 1, v3
	s_delay_alu instid0(VALU_DEP_4) | instskip(SKIP_2) | instid1(VALU_DEP_2)
	v_cvt_f32_i32_e32 v5, v5
	v_cvt_f32_i32_e32 v3, v3
	s_wait_kmcnt 0x0
	v_dual_mul_f32 v2, s0, v2 :: v_dual_mul_f32 v5, s0, v5
	v_dual_mul_f32 v6, s1, v6 :: v_dual_mul_f32 v4, s1, v4
	v_cvt_f32_i32_e32 v7, v7
	s_delay_alu instid0(VALU_DEP_3) | instskip(NEXT) | instid1(VALU_DEP_4)
	v_ceil_f32_e32 v2, v2
	v_ceil_f32_e32 v5, v5
	s_delay_alu instid0(VALU_DEP_4) | instskip(SKIP_1) | instid1(VALU_DEP_4)
	v_ceil_f32_e32 v6, v6
	v_ceil_f32_e32 v4, v4
	v_cvt_i32_f32_e32 v2, v2
	s_delay_alu instid0(VALU_DEP_4)
	v_cvt_i32_f32_e32 v5, v5
	v_mul_f32_e32 v7, s2, v7
	v_cvt_i32_f32_e32 v6, v6
	v_mul_f32_e32 v3, s2, v3
	v_cvt_i32_f32_e32 v4, v4
	v_min_i32_e32 v17, s10, v5
	v_ceil_f32_e32 v7, v7
	v_min_i32_e32 v16, s12, v6
	v_ceil_f32_e32 v3, v3
	v_min_i32_e32 v18, s12, v4
	v_min_i32_e32 v20, s10, v2
	v_cvt_i32_f32_e32 v7, v7
	v_cmp_gt_i32_e64 s0, v17, v2
	v_cvt_i32_f32_e32 v3, v3
	v_cmp_gt_i32_e64 s1, v18, v6
	s_mul_u64 s[10:11], s[18:19], s[10:11]
	v_min_i32_e32 v19, s14, v7
	s_mul_u64 s[12:13], s[16:17], s[8:9]
	v_min_i32_e32 v21, s14, v3
	s_mov_b64 s[16:17], 0
	s_delay_alu instid0(VALU_DEP_2)
	v_cmp_gt_i32_e64 s2, v19, v3
	s_branch .LBB11_33
.LBB11_31:                              ;   in Loop: Header=BB11_33 Depth=1
	s_or_b32 exec_lo, exec_lo, s20
.LBB11_32:                              ;   in Loop: Header=BB11_33 Depth=1
	s_delay_alu instid0(SALU_CYCLE_1)
	s_or_b32 exec_lo, exec_lo, s3
	s_add_nc_u64 s[16:17], s[16:17], 1
	v_lshl_add_u64 v[2:3], v[0:1], 2, s[22:23]
	v_cmp_le_u64_e64 s3, s[6:7], s[16:17]
	v_add_nc_u64_e32 v[0:1], s[12:13], v[0:1]
	global_store_b32 v[2:3], v22, off
	s_and_b32 vcc_lo, exec_lo, s3
	s_cbranch_vccnz .LBB11_44
.LBB11_33:                              ; =>This Loop Header: Depth=1
                                        ;     Child Loop BB11_37 Depth 2
                                        ;       Child Loop BB11_40 Depth 3
                                        ;         Child Loop BB11_42 Depth 4
	s_wait_xcnt 0x0
	v_mov_b32_e32 v22, 0
	s_and_saveexec_b32 s3, s0
	s_cbranch_execz .LBB11_32
; %bb.34:                               ;   in Loop: Header=BB11_33 Depth=1
	v_mad_nc_u64_u32 v[2:3], s16, s8, v[8:9]
	s_mul_i32 s20, s17, s8
	s_mul_i32 s21, s16, s9
	v_dual_mov_b32 v22, 0 :: v_dual_mov_b32 v4, v20
	s_delay_alu instid0(VALU_DEP_2) | instskip(SKIP_1) | instid1(VALU_DEP_1)
	v_add3_u32 v3, s21, s20, v3
	s_mov_b32 s20, 0
	v_mul_u64_e32 v[2:3], s[10:11], v[2:3]
	s_delay_alu instid0(VALU_DEP_1)
	v_lshl_add_u64 v[2:3], v[2:3], 2, s[4:5]
	s_branch .LBB11_37
.LBB11_35:                              ;   in Loop: Header=BB11_37 Depth=2
	s_or_b32 exec_lo, exec_lo, s24
.LBB11_36:                              ;   in Loop: Header=BB11_37 Depth=2
	s_delay_alu instid0(SALU_CYCLE_1) | instskip(SKIP_1) | instid1(VALU_DEP_1)
	s_or_b32 exec_lo, exec_lo, s21
	v_add_nc_u32_e32 v4, 1, v4
	v_cmp_ge_i32_e32 vcc_lo, v4, v17
	s_or_b32 s20, vcc_lo, s20
	s_delay_alu instid0(SALU_CYCLE_1)
	s_and_not1_b32 exec_lo, exec_lo, s20
	s_cbranch_execz .LBB11_31
.LBB11_37:                              ;   Parent Loop BB11_33 Depth=1
                                        ; =>  This Loop Header: Depth=2
                                        ;       Child Loop BB11_40 Depth 3
                                        ;         Child Loop BB11_42 Depth 4
	s_and_saveexec_b32 s21, s1
	s_cbranch_execz .LBB11_36
; %bb.38:                               ;   in Loop: Header=BB11_37 Depth=2
	v_dual_mov_b32 v10, v16 :: v_dual_ashrrev_i32 v5, 31, v4
	s_mov_b32 s24, 0
	s_delay_alu instid0(VALU_DEP_1) | instskip(NEXT) | instid1(VALU_DEP_1)
	v_mul_u64_e32 v[6:7], s[18:19], v[4:5]
	v_lshl_add_u64 v[6:7], v[6:7], 2, v[2:3]
	s_branch .LBB11_40
.LBB11_39:                              ;   in Loop: Header=BB11_40 Depth=3
	s_or_b32 exec_lo, exec_lo, s25
	v_add_nc_u32_e32 v10, 1, v10
	s_delay_alu instid0(VALU_DEP_1) | instskip(SKIP_1) | instid1(SALU_CYCLE_1)
	v_cmp_ge_i32_e32 vcc_lo, v10, v18
	s_or_b32 s24, vcc_lo, s24
	s_and_not1_b32 exec_lo, exec_lo, s24
	s_cbranch_execz .LBB11_35
.LBB11_40:                              ;   Parent Loop BB11_33 Depth=1
                                        ;     Parent Loop BB11_37 Depth=2
                                        ; =>    This Loop Header: Depth=3
                                        ;         Child Loop BB11_42 Depth 4
	s_and_saveexec_b32 s25, s2
	s_cbranch_execz .LBB11_39
; %bb.41:                               ;   in Loop: Header=BB11_40 Depth=3
	v_dual_mov_b32 v14, v21 :: v_dual_ashrrev_i32 v11, 31, v10
	s_mov_b32 s26, 0
	s_delay_alu instid0(VALU_DEP_1) | instskip(NEXT) | instid1(VALU_DEP_1)
	v_mul_u64_e32 v[12:13], s[14:15], v[10:11]
	v_lshl_add_u64 v[12:13], v[12:13], 2, v[6:7]
.LBB11_42:                              ;   Parent Loop BB11_33 Depth=1
                                        ;     Parent Loop BB11_37 Depth=2
                                        ;       Parent Loop BB11_40 Depth=3
                                        ; =>      This Inner Loop Header: Depth=4
	s_delay_alu instid0(VALU_DEP_3) | instskip(NEXT) | instid1(VALU_DEP_1)
	v_ashrrev_i32_e32 v15, 31, v14
	v_lshl_add_u64 v[24:25], v[14:15], 2, v[12:13]
	v_add_nc_u32_e32 v14, 1, v14
	global_load_b32 v5, v[24:25], off
	v_cmp_ge_i32_e32 vcc_lo, v14, v19
	s_or_b32 s26, vcc_lo, s26
	s_wait_loadcnt 0x0
	v_add_f32_e32 v22, v22, v5
	s_wait_xcnt 0x0
	s_and_not1_b32 exec_lo, exec_lo, s26
	s_cbranch_execnz .LBB11_42
; %bb.43:                               ;   in Loop: Header=BB11_40 Depth=3
	s_or_b32 exec_lo, exec_lo, s26
	s_branch .LBB11_39
.LBB11_44:
	s_endpgm
	.section	.rodata,"a",@progbits
	.p2align	6, 0x0
	.amdhsa_kernel _ZN2at6native12_GLOBAL__N_137upsample_nearest3d_backward_out_frameIffXadL_ZNS0_40nearest_neighbor_bw_compute_source_indexEfiiEEEEvPKT_mmmmmmmmPS3_fff
		.amdhsa_group_segment_fixed_size 0
		.amdhsa_private_segment_fixed_size 0
		.amdhsa_kernarg_size 352
		.amdhsa_user_sgpr_count 2
		.amdhsa_user_sgpr_dispatch_ptr 0
		.amdhsa_user_sgpr_queue_ptr 0
		.amdhsa_user_sgpr_kernarg_segment_ptr 1
		.amdhsa_user_sgpr_dispatch_id 0
		.amdhsa_user_sgpr_kernarg_preload_length 0
		.amdhsa_user_sgpr_kernarg_preload_offset 0
		.amdhsa_user_sgpr_private_segment_size 0
		.amdhsa_wavefront_size32 1
		.amdhsa_uses_dynamic_stack 0
		.amdhsa_enable_private_segment 0
		.amdhsa_system_sgpr_workgroup_id_x 1
		.amdhsa_system_sgpr_workgroup_id_y 0
		.amdhsa_system_sgpr_workgroup_id_z 0
		.amdhsa_system_sgpr_workgroup_info 0
		.amdhsa_system_vgpr_workitem_id 0
		.amdhsa_next_free_vgpr 26
		.amdhsa_next_free_sgpr 39
		.amdhsa_named_barrier_count 0
		.amdhsa_reserve_vcc 1
		.amdhsa_float_round_mode_32 0
		.amdhsa_float_round_mode_16_64 0
		.amdhsa_float_denorm_mode_32 3
		.amdhsa_float_denorm_mode_16_64 3
		.amdhsa_fp16_overflow 0
		.amdhsa_memory_ordered 1
		.amdhsa_forward_progress 1
		.amdhsa_inst_pref_size 45
		.amdhsa_round_robin_scheduling 0
		.amdhsa_exception_fp_ieee_invalid_op 0
		.amdhsa_exception_fp_denorm_src 0
		.amdhsa_exception_fp_ieee_div_zero 0
		.amdhsa_exception_fp_ieee_overflow 0
		.amdhsa_exception_fp_ieee_underflow 0
		.amdhsa_exception_fp_ieee_inexact 0
		.amdhsa_exception_int_div_zero 0
	.end_amdhsa_kernel
	.section	.text._ZN2at6native12_GLOBAL__N_137upsample_nearest3d_backward_out_frameIffXadL_ZNS0_40nearest_neighbor_bw_compute_source_indexEfiiEEEEvPKT_mmmmmmmmPS3_fff,"axG",@progbits,_ZN2at6native12_GLOBAL__N_137upsample_nearest3d_backward_out_frameIffXadL_ZNS0_40nearest_neighbor_bw_compute_source_indexEfiiEEEEvPKT_mmmmmmmmPS3_fff,comdat
.Lfunc_end11:
	.size	_ZN2at6native12_GLOBAL__N_137upsample_nearest3d_backward_out_frameIffXadL_ZNS0_40nearest_neighbor_bw_compute_source_indexEfiiEEEEvPKT_mmmmmmmmPS3_fff, .Lfunc_end11-_ZN2at6native12_GLOBAL__N_137upsample_nearest3d_backward_out_frameIffXadL_ZNS0_40nearest_neighbor_bw_compute_source_indexEfiiEEEEvPKT_mmmmmmmmPS3_fff
                                        ; -- End function
	.set _ZN2at6native12_GLOBAL__N_137upsample_nearest3d_backward_out_frameIffXadL_ZNS0_40nearest_neighbor_bw_compute_source_indexEfiiEEEEvPKT_mmmmmmmmPS3_fff.num_vgpr, 26
	.set _ZN2at6native12_GLOBAL__N_137upsample_nearest3d_backward_out_frameIffXadL_ZNS0_40nearest_neighbor_bw_compute_source_indexEfiiEEEEvPKT_mmmmmmmmPS3_fff.num_agpr, 0
	.set _ZN2at6native12_GLOBAL__N_137upsample_nearest3d_backward_out_frameIffXadL_ZNS0_40nearest_neighbor_bw_compute_source_indexEfiiEEEEvPKT_mmmmmmmmPS3_fff.numbered_sgpr, 39
	.set _ZN2at6native12_GLOBAL__N_137upsample_nearest3d_backward_out_frameIffXadL_ZNS0_40nearest_neighbor_bw_compute_source_indexEfiiEEEEvPKT_mmmmmmmmPS3_fff.num_named_barrier, 0
	.set _ZN2at6native12_GLOBAL__N_137upsample_nearest3d_backward_out_frameIffXadL_ZNS0_40nearest_neighbor_bw_compute_source_indexEfiiEEEEvPKT_mmmmmmmmPS3_fff.private_seg_size, 0
	.set _ZN2at6native12_GLOBAL__N_137upsample_nearest3d_backward_out_frameIffXadL_ZNS0_40nearest_neighbor_bw_compute_source_indexEfiiEEEEvPKT_mmmmmmmmPS3_fff.uses_vcc, 1
	.set _ZN2at6native12_GLOBAL__N_137upsample_nearest3d_backward_out_frameIffXadL_ZNS0_40nearest_neighbor_bw_compute_source_indexEfiiEEEEvPKT_mmmmmmmmPS3_fff.uses_flat_scratch, 0
	.set _ZN2at6native12_GLOBAL__N_137upsample_nearest3d_backward_out_frameIffXadL_ZNS0_40nearest_neighbor_bw_compute_source_indexEfiiEEEEvPKT_mmmmmmmmPS3_fff.has_dyn_sized_stack, 0
	.set _ZN2at6native12_GLOBAL__N_137upsample_nearest3d_backward_out_frameIffXadL_ZNS0_40nearest_neighbor_bw_compute_source_indexEfiiEEEEvPKT_mmmmmmmmPS3_fff.has_recursion, 0
	.set _ZN2at6native12_GLOBAL__N_137upsample_nearest3d_backward_out_frameIffXadL_ZNS0_40nearest_neighbor_bw_compute_source_indexEfiiEEEEvPKT_mmmmmmmmPS3_fff.has_indirect_call, 0
	.section	.AMDGPU.csdata,"",@progbits
; Kernel info:
; codeLenInByte = 5688
; TotalNumSgprs: 41
; NumVgprs: 26
; ScratchSize: 0
; MemoryBound: 0
; FloatMode: 240
; IeeeMode: 1
; LDSByteSize: 0 bytes/workgroup (compile time only)
; SGPRBlocks: 0
; VGPRBlocks: 1
; NumSGPRsForWavesPerEU: 41
; NumVGPRsForWavesPerEU: 26
; NamedBarCnt: 0
; Occupancy: 16
; WaveLimiterHint : 0
; COMPUTE_PGM_RSRC2:SCRATCH_EN: 0
; COMPUTE_PGM_RSRC2:USER_SGPR: 2
; COMPUTE_PGM_RSRC2:TRAP_HANDLER: 0
; COMPUTE_PGM_RSRC2:TGID_X_EN: 1
; COMPUTE_PGM_RSRC2:TGID_Y_EN: 0
; COMPUTE_PGM_RSRC2:TGID_Z_EN: 0
; COMPUTE_PGM_RSRC2:TIDIG_COMP_CNT: 0
	.section	.text._ZN2at6native12_GLOBAL__N_137upsample_nearest3d_backward_out_frameIN3c104HalfEfXadL_ZNS0_40nearest_neighbor_bw_compute_source_indexEfiiEEEEvPKT_mmmmmmmmPS5_fff,"axG",@progbits,_ZN2at6native12_GLOBAL__N_137upsample_nearest3d_backward_out_frameIN3c104HalfEfXadL_ZNS0_40nearest_neighbor_bw_compute_source_indexEfiiEEEEvPKT_mmmmmmmmPS5_fff,comdat
	.globl	_ZN2at6native12_GLOBAL__N_137upsample_nearest3d_backward_out_frameIN3c104HalfEfXadL_ZNS0_40nearest_neighbor_bw_compute_source_indexEfiiEEEEvPKT_mmmmmmmmPS5_fff ; -- Begin function _ZN2at6native12_GLOBAL__N_137upsample_nearest3d_backward_out_frameIN3c104HalfEfXadL_ZNS0_40nearest_neighbor_bw_compute_source_indexEfiiEEEEvPKT_mmmmmmmmPS5_fff
	.p2align	8
	.type	_ZN2at6native12_GLOBAL__N_137upsample_nearest3d_backward_out_frameIN3c104HalfEfXadL_ZNS0_40nearest_neighbor_bw_compute_source_indexEfiiEEEEvPKT_mmmmmmmmPS5_fff,@function
_ZN2at6native12_GLOBAL__N_137upsample_nearest3d_backward_out_frameIN3c104HalfEfXadL_ZNS0_40nearest_neighbor_bw_compute_source_indexEfiiEEEEvPKT_mmmmmmmmPS5_fff: ; @_ZN2at6native12_GLOBAL__N_137upsample_nearest3d_backward_out_frameIN3c104HalfEfXadL_ZNS0_40nearest_neighbor_bw_compute_source_indexEfiiEEEEvPKT_mmmmmmmmPS5_fff
; %bb.0:
	s_clause 0x2
	s_load_b32 s2, s[0:1], 0x6c
	s_load_b512 s[4:19], s[0:1], 0x0
	s_load_b128 s[20:23], s[0:1], 0x40
	s_bfe_u32 s3, ttmp6, 0x4000c
	v_mov_b32_e32 v2, 0
	s_add_co_i32 s3, s3, 1
	s_and_b32 s24, ttmp6, 15
	s_mul_i32 s3, ttmp9, s3
	s_getreg_b32 s25, hwreg(HW_REG_IB_STS2, 6, 4)
	v_mov_b32_e32 v1, v2
	s_add_co_i32 s24, s24, s3
	s_wait_kmcnt 0x0
	s_and_b32 s2, s2, 0xffff
	s_cmp_eq_u32 s25, 0
	s_cselect_b32 s3, ttmp9, s24
	s_mul_u64 s[24:25], s[18:19], s[16:17]
	v_mad_nc_u64_u32 v[0:1], s2, s3, v[0:1]
	s_mul_u64 s[2:3], s[24:25], s[8:9]
	s_delay_alu instid0(SALU_CYCLE_1)
	s_mul_u64 s[2:3], s[2:3], s[20:21]
	s_delay_alu instid0(VALU_DEP_1) | instid1(SALU_CYCLE_1)
	v_cmp_gt_u64_e32 vcc_lo, s[2:3], v[0:1]
	s_and_saveexec_b32 s2, vcc_lo
	s_cbranch_execz .LBB12_44
; %bb.1:
	v_or_b32_e32 v3, s19, v1
	s_delay_alu instid0(VALU_DEP_1) | instskip(SKIP_1) | instid1(SALU_CYCLE_1)
	v_cmp_ne_u64_e32 vcc_lo, 0, v[2:3]
                                        ; implicit-def: $vgpr2_vgpr3
	s_and_saveexec_b32 s2, vcc_lo
	s_xor_b32 s3, exec_lo, s2
	s_cbranch_execz .LBB12_3
; %bb.2:
	s_cvt_f32_u32 s2, s18
	s_cvt_f32_u32 s26, s19
	s_sub_nc_u64 s[28:29], 0, s[18:19]
	s_mov_b32 s35, 0
	v_dual_mov_b32 v3, 0 :: v_dual_mov_b32 v2, v0
	s_fmamk_f32 s2, s26, 0x4f800000, s2
	s_delay_alu instid0(SALU_CYCLE_3) | instskip(NEXT) | instid1(TRANS32_DEP_1)
	v_s_rcp_f32 s2, s2
	s_mul_f32 s2, s2, 0x5f7ffffc
	s_delay_alu instid0(SALU_CYCLE_3) | instskip(NEXT) | instid1(SALU_CYCLE_3)
	s_mul_f32 s26, s2, 0x2f800000
	s_trunc_f32 s26, s26
	s_delay_alu instid0(SALU_CYCLE_3) | instskip(SKIP_1) | instid1(SALU_CYCLE_2)
	s_fmamk_f32 s2, s26, 0xcf800000, s2
	s_cvt_u32_f32 s27, s26
	s_cvt_u32_f32 s26, s2
	s_delay_alu instid0(SALU_CYCLE_3) | instskip(NEXT) | instid1(SALU_CYCLE_1)
	s_mul_u64 s[30:31], s[28:29], s[26:27]
	s_mul_hi_u32 s37, s26, s31
	s_mul_i32 s36, s26, s31
	s_mul_hi_u32 s34, s26, s30
	s_mul_i32 s33, s27, s30
	s_add_nc_u64 s[36:37], s[34:35], s[36:37]
	s_mul_hi_u32 s2, s27, s30
	s_mul_hi_u32 s38, s27, s31
	s_mul_i32 s30, s27, s31
	s_add_co_u32 s31, s36, s33
	s_add_co_ci_u32 s34, s37, s2
	s_add_co_ci_u32 s31, s38, 0
	s_delay_alu instid0(SALU_CYCLE_1) | instskip(NEXT) | instid1(SALU_CYCLE_1)
	s_add_nc_u64 s[30:31], s[34:35], s[30:31]
	s_add_co_u32 s26, s26, s30
	s_cselect_b32 s2, -1, 0
	s_delay_alu instid0(SALU_CYCLE_1) | instskip(SKIP_1) | instid1(SALU_CYCLE_1)
	s_cmp_lg_u32 s2, 0
	s_add_co_ci_u32 s27, s27, s31
	s_mul_u64 s[28:29], s[28:29], s[26:27]
	s_delay_alu instid0(SALU_CYCLE_1)
	s_mul_hi_u32 s31, s26, s29
	s_mul_i32 s30, s26, s29
	s_mul_hi_u32 s34, s26, s28
	s_mul_i32 s33, s27, s28
	s_add_nc_u64 s[30:31], s[34:35], s[30:31]
	s_mul_hi_u32 s2, s27, s28
	s_mul_hi_u32 s36, s27, s29
	s_mul_i32 s28, s27, s29
	s_add_co_u32 s29, s30, s33
	s_add_co_ci_u32 s34, s31, s2
	s_add_co_ci_u32 s29, s36, 0
	s_delay_alu instid0(SALU_CYCLE_1) | instskip(NEXT) | instid1(SALU_CYCLE_1)
	s_add_nc_u64 s[28:29], s[34:35], s[28:29]
	s_add_co_u32 s2, s26, s28
	s_cselect_b32 s26, -1, 0
	s_delay_alu instid0(SALU_CYCLE_1)
	s_cmp_lg_u32 s26, 0
	s_add_co_ci_u32 s34, s27, s29
	s_mov_b64 s[26:27], 0xffffffff
	v_mul_u64_e32 v[4:5], s[34:35], v[2:3]
	v_mul_hi_u32 v2, v0, s2
	s_and_b64 s[26:27], s[2:3], s[26:27]
	s_delay_alu instid0(VALU_DEP_1) | instskip(SKIP_1) | instid1(VALU_DEP_1)
	v_add_nc_u64_e32 v[4:5], v[2:3], v[4:5]
	v_mov_b32_e32 v2, v1
	v_mul_u64_e32 v[6:7], s[26:27], v[2:3]
	v_mul_u64_e32 v[8:9], s[34:35], v[2:3]
	s_delay_alu instid0(VALU_DEP_2) | instskip(NEXT) | instid1(VALU_DEP_3)
	v_add_co_u32 v2, vcc_lo, v4, v6
	v_add_co_ci_u32_e32 v2, vcc_lo, v5, v7, vcc_lo
	s_delay_alu instid0(VALU_DEP_3) | instskip(NEXT) | instid1(VALU_DEP_1)
	v_add_co_ci_u32_e32 v9, vcc_lo, 0, v9, vcc_lo
	v_add_nc_u64_e32 v[2:3], v[2:3], v[8:9]
	s_delay_alu instid0(VALU_DEP_1) | instskip(NEXT) | instid1(VALU_DEP_1)
	v_mul_u64_e32 v[4:5], s[18:19], v[2:3]
	v_sub_nc_u32_e32 v6, v1, v5
	s_delay_alu instid0(VALU_DEP_2) | instskip(NEXT) | instid1(VALU_DEP_1)
	v_sub_co_u32 v4, vcc_lo, v0, v4
	v_sub_co_ci_u32_e64 v11, null, v1, v5, vcc_lo
	s_delay_alu instid0(VALU_DEP_3) | instskip(NEXT) | instid1(VALU_DEP_3)
	v_subrev_co_ci_u32_e64 v6, null, s19, v6, vcc_lo
	v_sub_co_u32 v8, s2, v4, s18
	v_cmp_le_u32_e32 vcc_lo, s18, v4
	s_delay_alu instid0(VALU_DEP_3) | instskip(NEXT) | instid1(VALU_DEP_3)
	v_subrev_co_ci_u32_e64 v9, null, 0, v6, s2
	v_cmp_le_u32_e64 s2, s18, v8
	v_add_nc_u64_e32 v[6:7], 2, v[2:3]
	v_cndmask_b32_e64 v12, 0, -1, vcc_lo
	s_delay_alu instid0(VALU_DEP_4) | instskip(SKIP_3) | instid1(VALU_DEP_1)
	v_cmp_eq_u32_e32 vcc_lo, s19, v9
	v_add_nc_u64_e32 v[4:5], 1, v[2:3]
	v_cndmask_b32_e64 v8, 0, -1, s2
	v_cmp_le_u32_e64 s2, s19, v9
	v_cndmask_b32_e64 v10, 0, -1, s2
	v_cmp_eq_u32_e64 s2, s19, v11
	s_delay_alu instid0(VALU_DEP_2) | instskip(SKIP_2) | instid1(VALU_DEP_3)
	v_cndmask_b32_e32 v8, v10, v8, vcc_lo
	v_cmp_le_u32_e32 vcc_lo, s19, v11
	v_cndmask_b32_e64 v9, 0, -1, vcc_lo
	v_cmp_ne_u32_e32 vcc_lo, 0, v8
	s_delay_alu instid0(VALU_DEP_2) | instskip(SKIP_1) | instid1(VALU_DEP_2)
	v_dual_cndmask_b32 v8, v9, v12, s2 :: v_dual_cndmask_b32 v4, v4, v6, vcc_lo
	v_cndmask_b32_e32 v5, v5, v7, vcc_lo
	v_cmp_ne_u32_e32 vcc_lo, 0, v8
	s_delay_alu instid0(VALU_DEP_2)
	v_dual_cndmask_b32 v3, v3, v5 :: v_dual_cndmask_b32 v2, v2, v4
.LBB12_3:
	s_and_not1_saveexec_b32 s2, s3
	s_cbranch_execz .LBB12_5
; %bb.4:
	v_cvt_f32_u32_e32 v2, s18
	s_sub_co_i32 s3, 0, s18
	s_delay_alu instid0(VALU_DEP_1) | instskip(SKIP_1) | instid1(TRANS32_DEP_1)
	v_rcp_iflag_f32_e32 v2, v2
	v_nop
	v_mul_f32_e32 v2, 0x4f7ffffe, v2
	s_delay_alu instid0(VALU_DEP_1) | instskip(NEXT) | instid1(VALU_DEP_1)
	v_cvt_u32_f32_e32 v2, v2
	v_mul_lo_u32 v3, s3, v2
	s_delay_alu instid0(VALU_DEP_1) | instskip(NEXT) | instid1(VALU_DEP_1)
	v_mul_hi_u32 v3, v2, v3
	v_add_nc_u32_e32 v2, v2, v3
	s_delay_alu instid0(VALU_DEP_1) | instskip(NEXT) | instid1(VALU_DEP_1)
	v_mul_hi_u32 v2, v0, v2
	v_mul_lo_u32 v3, v2, s18
	s_delay_alu instid0(VALU_DEP_1) | instskip(NEXT) | instid1(VALU_DEP_1)
	v_dual_add_nc_u32 v4, 1, v2 :: v_dual_sub_nc_u32 v3, v0, v3
	v_subrev_nc_u32_e32 v5, s18, v3
	v_cmp_le_u32_e32 vcc_lo, s18, v3
	s_delay_alu instid0(VALU_DEP_2) | instskip(NEXT) | instid1(VALU_DEP_1)
	v_dual_cndmask_b32 v3, v3, v5 :: v_dual_cndmask_b32 v2, v2, v4
	v_cmp_le_u32_e32 vcc_lo, s18, v3
	s_delay_alu instid0(VALU_DEP_2) | instskip(NEXT) | instid1(VALU_DEP_1)
	v_dual_mov_b32 v3, 0 :: v_dual_add_nc_u32 v4, 1, v2
	v_cndmask_b32_e32 v2, v2, v4, vcc_lo
.LBB12_5:
	s_or_b32 exec_lo, exec_lo, s2
	s_delay_alu instid0(VALU_DEP_1) | instskip(SKIP_1) | instid1(VALU_DEP_1)
	v_dual_mov_b32 v6, 0 :: v_dual_bitop2_b32 v7, s21, v3 bitop3:0x54
                                        ; implicit-def: $vgpr4_vgpr5
	s_mov_b32 s2, exec_lo
	v_cmpx_ne_u64_e32 0, v[6:7]
	s_xor_b32 s3, exec_lo, s2
	s_cbranch_execz .LBB12_7
; %bb.6:
	s_cvt_f32_u32 s2, s20
	s_cvt_f32_u32 s26, s21
	s_sub_nc_u64 s[28:29], 0, s[20:21]
	s_mov_b32 s35, 0
	v_dual_mov_b32 v4, v2 :: v_dual_mov_b32 v5, v6
	s_fmamk_f32 s2, s26, 0x4f800000, s2
	v_dual_mov_b32 v8, v3 :: v_dual_mov_b32 v9, v6
	v_dual_mov_b32 v13, v6 :: v_dual_mov_b32 v7, v6
	s_delay_alu instid0(SALU_CYCLE_1) | instskip(NEXT) | instid1(TRANS32_DEP_1)
	v_s_rcp_f32 s2, s2
	s_mul_f32 s2, s2, 0x5f7ffffc
	s_delay_alu instid0(SALU_CYCLE_3) | instskip(NEXT) | instid1(SALU_CYCLE_3)
	s_mul_f32 s26, s2, 0x2f800000
	s_trunc_f32 s26, s26
	s_delay_alu instid0(SALU_CYCLE_3) | instskip(SKIP_1) | instid1(SALU_CYCLE_2)
	s_fmamk_f32 s2, s26, 0xcf800000, s2
	s_cvt_u32_f32 s27, s26
	s_cvt_u32_f32 s26, s2
	s_delay_alu instid0(SALU_CYCLE_3) | instskip(NEXT) | instid1(SALU_CYCLE_1)
	s_mul_u64 s[30:31], s[28:29], s[26:27]
	s_mul_hi_u32 s37, s26, s31
	s_mul_i32 s36, s26, s31
	s_mul_hi_u32 s34, s26, s30
	s_mul_i32 s33, s27, s30
	s_add_nc_u64 s[36:37], s[34:35], s[36:37]
	s_mul_hi_u32 s2, s27, s30
	s_mul_hi_u32 s38, s27, s31
	s_mul_i32 s30, s27, s31
	s_add_co_u32 s31, s36, s33
	s_add_co_ci_u32 s34, s37, s2
	s_add_co_ci_u32 s31, s38, 0
	s_delay_alu instid0(SALU_CYCLE_1) | instskip(NEXT) | instid1(SALU_CYCLE_1)
	s_add_nc_u64 s[30:31], s[34:35], s[30:31]
	s_add_co_u32 s26, s26, s30
	s_cselect_b32 s2, -1, 0
	s_delay_alu instid0(SALU_CYCLE_1) | instskip(SKIP_1) | instid1(SALU_CYCLE_1)
	s_cmp_lg_u32 s2, 0
	s_add_co_ci_u32 s27, s27, s31
	s_mul_u64 s[28:29], s[28:29], s[26:27]
	s_delay_alu instid0(SALU_CYCLE_1)
	s_mul_hi_u32 s31, s26, s29
	s_mul_i32 s30, s26, s29
	s_mul_hi_u32 s34, s26, s28
	s_mul_i32 s33, s27, s28
	s_add_nc_u64 s[30:31], s[34:35], s[30:31]
	s_mul_hi_u32 s2, s27, s28
	s_mul_hi_u32 s36, s27, s29
	s_mul_i32 s28, s27, s29
	s_add_co_u32 s29, s30, s33
	s_add_co_ci_u32 s34, s31, s2
	s_add_co_ci_u32 s29, s36, 0
	s_delay_alu instid0(SALU_CYCLE_1) | instskip(NEXT) | instid1(SALU_CYCLE_1)
	s_add_nc_u64 s[28:29], s[34:35], s[28:29]
	s_add_co_u32 s2, s26, s28
	s_cselect_b32 s26, -1, 0
	v_nop
	v_mul_hi_u32 v12, v2, s2
	s_cmp_lg_u32 s26, 0
	s_add_co_ci_u32 s34, s27, s29
	s_mov_b64 s[26:27], 0xffffffff
	v_mul_u64_e32 v[4:5], s[34:35], v[4:5]
	s_and_b64 s[26:27], s[2:3], s[26:27]
	s_delay_alu instid0(SALU_CYCLE_1) | instskip(SKIP_1) | instid1(VALU_DEP_3)
	v_mul_u64_e32 v[10:11], s[26:27], v[8:9]
	v_mul_u64_e32 v[8:9], s[34:35], v[8:9]
	v_add_nc_u64_e32 v[4:5], v[12:13], v[4:5]
	s_delay_alu instid0(VALU_DEP_1) | instskip(NEXT) | instid1(VALU_DEP_2)
	v_add_co_u32 v4, vcc_lo, v4, v10
	v_add_co_ci_u32_e32 v6, vcc_lo, v5, v11, vcc_lo
	s_delay_alu instid0(VALU_DEP_4) | instskip(NEXT) | instid1(VALU_DEP_1)
	v_add_co_ci_u32_e32 v9, vcc_lo, 0, v9, vcc_lo
	v_add_nc_u64_e32 v[4:5], v[6:7], v[8:9]
	s_delay_alu instid0(VALU_DEP_1) | instskip(NEXT) | instid1(VALU_DEP_1)
	v_mul_u64_e32 v[6:7], s[20:21], v[4:5]
	v_sub_nc_u32_e32 v8, v3, v7
	s_delay_alu instid0(VALU_DEP_2) | instskip(NEXT) | instid1(VALU_DEP_1)
	v_sub_co_u32 v2, vcc_lo, v2, v6
	v_sub_co_ci_u32_e64 v7, null, v3, v7, vcc_lo
	s_delay_alu instid0(VALU_DEP_3) | instskip(NEXT) | instid1(VALU_DEP_3)
	v_subrev_co_ci_u32_e64 v6, null, s21, v8, vcc_lo
	v_sub_co_u32 v10, s2, v2, s20
	v_cmp_le_u32_e32 vcc_lo, s20, v2
	s_delay_alu instid0(VALU_DEP_3) | instskip(NEXT) | instid1(VALU_DEP_3)
	v_subrev_co_ci_u32_e64 v6, null, 0, v6, s2
	v_cmp_le_u32_e64 s2, s20, v10
	v_add_nc_u64_e32 v[8:9], 2, v[4:5]
	v_cndmask_b32_e64 v12, 0, -1, vcc_lo
	s_delay_alu instid0(VALU_DEP_4) | instskip(SKIP_3) | instid1(VALU_DEP_1)
	v_cmp_eq_u32_e32 vcc_lo, s21, v6
	v_add_nc_u64_e32 v[2:3], 1, v[4:5]
	v_cndmask_b32_e64 v10, 0, -1, s2
	v_cmp_le_u32_e64 s2, s21, v6
	v_cndmask_b32_e64 v11, 0, -1, s2
	v_cmp_eq_u32_e64 s2, s21, v7
	s_delay_alu instid0(VALU_DEP_2) | instskip(SKIP_2) | instid1(VALU_DEP_3)
	v_cndmask_b32_e32 v6, v11, v10, vcc_lo
	v_cmp_le_u32_e32 vcc_lo, s21, v7
	v_cndmask_b32_e64 v10, 0, -1, vcc_lo
	v_cmp_ne_u32_e32 vcc_lo, 0, v6
	s_delay_alu instid0(VALU_DEP_2) | instskip(SKIP_1) | instid1(VALU_DEP_2)
	v_cndmask_b32_e64 v6, v10, v12, s2
	v_dual_cndmask_b32 v2, v2, v8 :: v_dual_cndmask_b32 v3, v3, v9
	v_cmp_ne_u32_e32 vcc_lo, 0, v6
	s_delay_alu instid0(VALU_DEP_2)
	v_dual_cndmask_b32 v4, v4, v2 :: v_dual_cndmask_b32 v5, v5, v3
                                        ; implicit-def: $vgpr2_vgpr3
.LBB12_7:
	s_and_not1_saveexec_b32 s2, s3
	s_cbranch_execz .LBB12_9
; %bb.8:
	v_cvt_f32_u32_e32 v3, s20
	s_sub_co_i32 s3, 0, s20
	s_delay_alu instid0(VALU_DEP_1) | instskip(SKIP_1) | instid1(TRANS32_DEP_1)
	v_rcp_iflag_f32_e32 v3, v3
	v_nop
	v_mul_f32_e32 v3, 0x4f7ffffe, v3
	s_delay_alu instid0(VALU_DEP_1) | instskip(NEXT) | instid1(VALU_DEP_1)
	v_cvt_u32_f32_e32 v3, v3
	v_mul_lo_u32 v4, s3, v3
	s_delay_alu instid0(VALU_DEP_1) | instskip(NEXT) | instid1(VALU_DEP_1)
	v_mul_hi_u32 v4, v3, v4
	v_add_nc_u32_e32 v3, v3, v4
	s_delay_alu instid0(VALU_DEP_1) | instskip(NEXT) | instid1(VALU_DEP_1)
	v_mul_hi_u32 v3, v2, v3
	v_mul_lo_u32 v4, v3, s20
	s_delay_alu instid0(VALU_DEP_1) | instskip(NEXT) | instid1(VALU_DEP_1)
	v_dual_sub_nc_u32 v2, v2, v4 :: v_dual_add_nc_u32 v4, 1, v3
	v_subrev_nc_u32_e32 v5, s20, v2
	v_cmp_le_u32_e32 vcc_lo, s20, v2
	s_delay_alu instid0(VALU_DEP_2) | instskip(NEXT) | instid1(VALU_DEP_4)
	v_dual_cndmask_b32 v2, v2, v5 :: v_dual_mov_b32 v5, 0
	v_cndmask_b32_e32 v3, v3, v4, vcc_lo
	s_delay_alu instid0(VALU_DEP_2) | instskip(NEXT) | instid1(VALU_DEP_2)
	v_cmp_le_u32_e32 vcc_lo, s20, v2
	v_add_nc_u32_e32 v4, 1, v3
	s_delay_alu instid0(VALU_DEP_1)
	v_cndmask_b32_e32 v4, v3, v4, vcc_lo
.LBB12_9:
	s_or_b32 exec_lo, exec_lo, s2
	s_delay_alu instid0(VALU_DEP_1) | instskip(SKIP_1) | instid1(VALU_DEP_1)
	v_dual_mov_b32 v6, 0 :: v_dual_bitop2_b32 v7, s17, v5 bitop3:0x54
                                        ; implicit-def: $vgpr2_vgpr3
	s_mov_b32 s2, exec_lo
	v_cmpx_ne_u64_e32 0, v[6:7]
	s_xor_b32 s3, exec_lo, s2
	s_cbranch_execz .LBB12_11
; %bb.10:
	s_cvt_f32_u32 s2, s16
	s_cvt_f32_u32 s26, s17
	s_sub_nc_u64 s[28:29], 0, s[16:17]
	s_mov_b32 s35, 0
	v_dual_mov_b32 v2, v4 :: v_dual_mov_b32 v3, v6
	s_fmamk_f32 s2, s26, 0x4f800000, s2
	v_dual_mov_b32 v8, v5 :: v_dual_mov_b32 v9, v6
	v_dual_mov_b32 v13, v6 :: v_dual_mov_b32 v7, v6
	s_delay_alu instid0(SALU_CYCLE_1) | instskip(NEXT) | instid1(TRANS32_DEP_1)
	v_s_rcp_f32 s2, s2
	s_mul_f32 s2, s2, 0x5f7ffffc
	s_delay_alu instid0(SALU_CYCLE_3) | instskip(NEXT) | instid1(SALU_CYCLE_3)
	s_mul_f32 s26, s2, 0x2f800000
	s_trunc_f32 s26, s26
	s_delay_alu instid0(SALU_CYCLE_3) | instskip(SKIP_1) | instid1(SALU_CYCLE_2)
	s_fmamk_f32 s2, s26, 0xcf800000, s2
	s_cvt_u32_f32 s27, s26
	s_cvt_u32_f32 s26, s2
	s_delay_alu instid0(SALU_CYCLE_3) | instskip(NEXT) | instid1(SALU_CYCLE_1)
	s_mul_u64 s[30:31], s[28:29], s[26:27]
	s_mul_hi_u32 s37, s26, s31
	s_mul_i32 s36, s26, s31
	s_mul_hi_u32 s34, s26, s30
	s_mul_i32 s33, s27, s30
	s_add_nc_u64 s[36:37], s[34:35], s[36:37]
	s_mul_hi_u32 s2, s27, s30
	s_mul_hi_u32 s38, s27, s31
	s_mul_i32 s30, s27, s31
	s_add_co_u32 s31, s36, s33
	s_add_co_ci_u32 s34, s37, s2
	s_add_co_ci_u32 s31, s38, 0
	s_delay_alu instid0(SALU_CYCLE_1) | instskip(NEXT) | instid1(SALU_CYCLE_1)
	s_add_nc_u64 s[30:31], s[34:35], s[30:31]
	s_add_co_u32 s26, s26, s30
	s_cselect_b32 s2, -1, 0
	s_delay_alu instid0(SALU_CYCLE_1) | instskip(SKIP_1) | instid1(SALU_CYCLE_1)
	s_cmp_lg_u32 s2, 0
	s_add_co_ci_u32 s27, s27, s31
	s_mul_u64 s[28:29], s[28:29], s[26:27]
	s_delay_alu instid0(SALU_CYCLE_1)
	s_mul_hi_u32 s31, s26, s29
	s_mul_i32 s30, s26, s29
	s_mul_hi_u32 s34, s26, s28
	s_mul_i32 s33, s27, s28
	s_add_nc_u64 s[30:31], s[34:35], s[30:31]
	s_mul_hi_u32 s2, s27, s28
	s_mul_hi_u32 s36, s27, s29
	s_mul_i32 s28, s27, s29
	s_add_co_u32 s29, s30, s33
	s_add_co_ci_u32 s34, s31, s2
	s_add_co_ci_u32 s29, s36, 0
	s_delay_alu instid0(SALU_CYCLE_1) | instskip(NEXT) | instid1(SALU_CYCLE_1)
	s_add_nc_u64 s[28:29], s[34:35], s[28:29]
	s_add_co_u32 s2, s26, s28
	s_cselect_b32 s26, -1, 0
	v_nop
	v_mul_hi_u32 v12, v4, s2
	s_cmp_lg_u32 s26, 0
	s_add_co_ci_u32 s34, s27, s29
	s_mov_b64 s[26:27], 0xffffffff
	v_mul_u64_e32 v[2:3], s[34:35], v[2:3]
	s_and_b64 s[26:27], s[2:3], s[26:27]
	s_delay_alu instid0(SALU_CYCLE_1) | instskip(SKIP_1) | instid1(VALU_DEP_3)
	v_mul_u64_e32 v[10:11], s[26:27], v[8:9]
	v_mul_u64_e32 v[8:9], s[34:35], v[8:9]
	v_add_nc_u64_e32 v[2:3], v[12:13], v[2:3]
	s_delay_alu instid0(VALU_DEP_1) | instskip(NEXT) | instid1(VALU_DEP_2)
	v_add_co_u32 v2, vcc_lo, v2, v10
	v_add_co_ci_u32_e32 v6, vcc_lo, v3, v11, vcc_lo
	s_delay_alu instid0(VALU_DEP_4) | instskip(NEXT) | instid1(VALU_DEP_1)
	v_add_co_ci_u32_e32 v9, vcc_lo, 0, v9, vcc_lo
	v_add_nc_u64_e32 v[2:3], v[6:7], v[8:9]
	s_delay_alu instid0(VALU_DEP_1) | instskip(NEXT) | instid1(VALU_DEP_1)
	v_mul_u64_e32 v[2:3], s[16:17], v[2:3]
	v_sub_nc_u32_e32 v6, v5, v3
	s_delay_alu instid0(VALU_DEP_2) | instskip(NEXT) | instid1(VALU_DEP_1)
	v_sub_co_u32 v2, vcc_lo, v4, v2
	v_sub_co_ci_u32_e64 v3, null, v5, v3, vcc_lo
	s_delay_alu instid0(VALU_DEP_3) | instskip(NEXT) | instid1(VALU_DEP_3)
	v_subrev_co_ci_u32_e64 v4, null, s17, v6, vcc_lo
	v_sub_co_u32 v5, vcc_lo, v2, s16
	v_cmp_le_u32_e64 s2, s16, v2
	s_delay_alu instid0(VALU_DEP_3) | instskip(SKIP_1) | instid1(VALU_DEP_3)
	v_subrev_co_ci_u32_e64 v6, null, 0, v4, vcc_lo
	v_subrev_co_ci_u32_e64 v4, null, s17, v4, vcc_lo
	v_cndmask_b32_e64 v7, 0, -1, s2
	v_cmp_le_u32_e64 s2, s16, v5
	v_cmp_le_u32_e32 vcc_lo, s17, v3
	s_delay_alu instid0(VALU_DEP_2) | instskip(SKIP_3) | instid1(VALU_DEP_3)
	v_cndmask_b32_e64 v8, 0, -1, s2
	v_cmp_le_u32_e64 s2, s17, v6
	v_cndmask_b32_e64 v10, 0, -1, vcc_lo
	v_cmp_eq_u32_e32 vcc_lo, s17, v6
	v_cndmask_b32_e64 v9, 0, -1, s2
	s_delay_alu instid0(VALU_DEP_1) | instskip(SKIP_1) | instid1(VALU_DEP_1)
	v_cndmask_b32_e32 v6, v9, v8, vcc_lo
	v_sub_co_u32 v8, vcc_lo, v5, s16
	v_subrev_co_ci_u32_e64 v4, null, 0, v4, vcc_lo
	v_cmp_eq_u32_e32 vcc_lo, s17, v3
	v_cndmask_b32_e32 v3, v10, v7, vcc_lo
	v_cmp_ne_u32_e32 vcc_lo, 0, v6
	v_cndmask_b32_e32 v4, v5, v8, vcc_lo
	s_delay_alu instid0(VALU_DEP_3) | instskip(NEXT) | instid1(VALU_DEP_2)
	v_cmp_ne_u32_e32 vcc_lo, 0, v3
	v_cndmask_b32_e32 v2, v2, v4, vcc_lo
                                        ; implicit-def: $vgpr4_vgpr5
.LBB12_11:
	s_and_not1_saveexec_b32 s2, s3
	s_cbranch_execz .LBB12_13
; %bb.12:
	v_cvt_f32_u32_e32 v2, s16
	s_sub_co_i32 s3, 0, s16
	s_delay_alu instid0(VALU_DEP_1) | instskip(SKIP_1) | instid1(TRANS32_DEP_1)
	v_rcp_iflag_f32_e32 v2, v2
	v_nop
	v_mul_f32_e32 v2, 0x4f7ffffe, v2
	s_delay_alu instid0(VALU_DEP_1) | instskip(NEXT) | instid1(VALU_DEP_1)
	v_cvt_u32_f32_e32 v2, v2
	v_mul_lo_u32 v3, s3, v2
	s_delay_alu instid0(VALU_DEP_1) | instskip(NEXT) | instid1(VALU_DEP_1)
	v_mul_hi_u32 v3, v2, v3
	v_add_nc_u32_e32 v2, v2, v3
	s_delay_alu instid0(VALU_DEP_1) | instskip(NEXT) | instid1(VALU_DEP_1)
	v_mul_hi_u32 v2, v4, v2
	v_mul_lo_u32 v2, v2, s16
	s_delay_alu instid0(VALU_DEP_1) | instskip(NEXT) | instid1(VALU_DEP_1)
	v_sub_nc_u32_e32 v2, v4, v2
	v_subrev_nc_u32_e32 v3, s16, v2
	v_cmp_le_u32_e32 vcc_lo, s16, v2
	s_delay_alu instid0(VALU_DEP_2) | instskip(NEXT) | instid1(VALU_DEP_1)
	v_cndmask_b32_e32 v2, v2, v3, vcc_lo
	v_subrev_nc_u32_e32 v3, s16, v2
	v_cmp_le_u32_e32 vcc_lo, s16, v2
	s_delay_alu instid0(VALU_DEP_2)
	v_cndmask_b32_e32 v2, v2, v3, vcc_lo
.LBB12_13:
	s_or_b32 exec_lo, exec_lo, s2
	v_dual_mov_b32 v6, 0 :: v_dual_bitop2_b32 v7, s21, v1 bitop3:0x54
                                        ; implicit-def: $vgpr4_vgpr5
	s_mov_b32 s2, exec_lo
	s_delay_alu instid0(VALU_DEP_1)
	v_cmpx_ne_u64_e32 0, v[6:7]
	s_xor_b32 s3, exec_lo, s2
	s_cbranch_execz .LBB12_15
; %bb.14:
	s_cvt_f32_u32 s2, s20
	s_cvt_f32_u32 s16, s21
	s_sub_nc_u64 s[26:27], 0, s[20:21]
	s_mov_b32 s31, 0
	v_dual_mov_b32 v4, v0 :: v_dual_mov_b32 v5, v6
	s_fmamk_f32 s2, s16, 0x4f800000, s2
	v_dual_mov_b32 v8, v1 :: v_dual_mov_b32 v9, v6
	v_dual_mov_b32 v13, v6 :: v_dual_mov_b32 v7, v6
	s_delay_alu instid0(SALU_CYCLE_1) | instskip(NEXT) | instid1(TRANS32_DEP_1)
	v_s_rcp_f32 s2, s2
	s_mul_f32 s2, s2, 0x5f7ffffc
	s_delay_alu instid0(SALU_CYCLE_3) | instskip(NEXT) | instid1(SALU_CYCLE_3)
	s_mul_f32 s16, s2, 0x2f800000
	s_trunc_f32 s16, s16
	s_delay_alu instid0(SALU_CYCLE_3) | instskip(SKIP_1) | instid1(SALU_CYCLE_2)
	s_fmamk_f32 s2, s16, 0xcf800000, s2
	s_cvt_u32_f32 s17, s16
	s_cvt_u32_f32 s16, s2
	s_delay_alu instid0(SALU_CYCLE_3) | instskip(NEXT) | instid1(SALU_CYCLE_1)
	s_mul_u64 s[28:29], s[26:27], s[16:17]
	s_mul_hi_u32 s35, s16, s29
	s_mul_i32 s34, s16, s29
	s_mul_hi_u32 s30, s16, s28
	s_mul_i32 s33, s17, s28
	s_add_nc_u64 s[34:35], s[30:31], s[34:35]
	s_mul_hi_u32 s2, s17, s28
	s_mul_hi_u32 s36, s17, s29
	s_mul_i32 s28, s17, s29
	s_add_co_u32 s29, s34, s33
	s_add_co_ci_u32 s30, s35, s2
	s_add_co_ci_u32 s29, s36, 0
	s_delay_alu instid0(SALU_CYCLE_1) | instskip(NEXT) | instid1(SALU_CYCLE_1)
	s_add_nc_u64 s[28:29], s[30:31], s[28:29]
	s_add_co_u32 s16, s16, s28
	s_cselect_b32 s2, -1, 0
	s_delay_alu instid0(SALU_CYCLE_1) | instskip(SKIP_1) | instid1(SALU_CYCLE_1)
	s_cmp_lg_u32 s2, 0
	s_add_co_ci_u32 s17, s17, s29
	s_mul_u64 s[26:27], s[26:27], s[16:17]
	s_delay_alu instid0(SALU_CYCLE_1)
	s_mul_hi_u32 s29, s16, s27
	s_mul_i32 s28, s16, s27
	s_mul_hi_u32 s30, s16, s26
	s_mul_i32 s33, s17, s26
	s_add_nc_u64 s[28:29], s[30:31], s[28:29]
	s_mul_hi_u32 s2, s17, s26
	s_mul_hi_u32 s34, s17, s27
	s_mul_i32 s26, s17, s27
	s_add_co_u32 s27, s28, s33
	s_add_co_ci_u32 s30, s29, s2
	s_add_co_ci_u32 s27, s34, 0
	s_delay_alu instid0(SALU_CYCLE_1) | instskip(NEXT) | instid1(SALU_CYCLE_1)
	s_add_nc_u64 s[26:27], s[30:31], s[26:27]
	s_add_co_u32 s2, s16, s26
	s_cselect_b32 s16, -1, 0
	v_nop
	v_mul_hi_u32 v12, v0, s2
	s_cmp_lg_u32 s16, 0
	s_add_co_ci_u32 s30, s17, s27
	s_mov_b64 s[16:17], 0xffffffff
	v_mul_u64_e32 v[4:5], s[30:31], v[4:5]
	s_and_b64 s[16:17], s[2:3], s[16:17]
	s_delay_alu instid0(SALU_CYCLE_1) | instskip(SKIP_1) | instid1(VALU_DEP_3)
	v_mul_u64_e32 v[10:11], s[16:17], v[8:9]
	v_mul_u64_e32 v[8:9], s[30:31], v[8:9]
	v_add_nc_u64_e32 v[4:5], v[12:13], v[4:5]
	s_delay_alu instid0(VALU_DEP_1) | instskip(NEXT) | instid1(VALU_DEP_2)
	v_add_co_u32 v3, vcc_lo, v4, v10
	v_add_co_ci_u32_e32 v6, vcc_lo, v5, v11, vcc_lo
	s_delay_alu instid0(VALU_DEP_4) | instskip(NEXT) | instid1(VALU_DEP_1)
	v_add_co_ci_u32_e32 v9, vcc_lo, 0, v9, vcc_lo
	v_add_nc_u64_e32 v[4:5], v[6:7], v[8:9]
	s_delay_alu instid0(VALU_DEP_1) | instskip(SKIP_1) | instid1(VALU_DEP_2)
	v_mul_u64_e32 v[6:7], s[20:21], v[4:5]
	v_add_nc_u64_e32 v[8:9], 2, v[4:5]
	v_sub_nc_u32_e32 v3, v1, v7
	s_delay_alu instid0(VALU_DEP_3) | instskip(NEXT) | instid1(VALU_DEP_1)
	v_sub_co_u32 v6, vcc_lo, v0, v6
	v_sub_co_ci_u32_e64 v12, null, v1, v7, vcc_lo
	s_delay_alu instid0(VALU_DEP_3) | instskip(NEXT) | instid1(VALU_DEP_3)
	v_subrev_co_ci_u32_e64 v3, null, s21, v3, vcc_lo
	v_sub_co_u32 v10, s2, v6, s20
	v_cmp_le_u32_e32 vcc_lo, s20, v6
	s_delay_alu instid0(VALU_DEP_3) | instskip(NEXT) | instid1(VALU_DEP_3)
	v_subrev_co_ci_u32_e64 v3, null, 0, v3, s2
	v_cmp_le_u32_e64 s2, s20, v10
	v_add_nc_u64_e32 v[6:7], 1, v[4:5]
	v_cndmask_b32_e64 v13, 0, -1, vcc_lo
	s_delay_alu instid0(VALU_DEP_4) | instskip(NEXT) | instid1(VALU_DEP_4)
	v_cmp_eq_u32_e32 vcc_lo, s21, v3
	v_cndmask_b32_e64 v10, 0, -1, s2
	v_cmp_le_u32_e64 s2, s21, v3
	s_delay_alu instid0(VALU_DEP_1) | instskip(SKIP_1) | instid1(VALU_DEP_2)
	v_cndmask_b32_e64 v11, 0, -1, s2
	v_cmp_eq_u32_e64 s2, s21, v12
	v_cndmask_b32_e32 v3, v11, v10, vcc_lo
	v_cmp_le_u32_e32 vcc_lo, s21, v12
	v_cndmask_b32_e64 v10, 0, -1, vcc_lo
	s_delay_alu instid0(VALU_DEP_3) | instskip(SKIP_1) | instid1(VALU_DEP_3)
	v_cmp_ne_u32_e32 vcc_lo, 0, v3
	v_cndmask_b32_e32 v7, v7, v9, vcc_lo
	v_cndmask_b32_e64 v3, v10, v13, s2
	v_cndmask_b32_e32 v6, v6, v8, vcc_lo
	s_delay_alu instid0(VALU_DEP_2) | instskip(NEXT) | instid1(VALU_DEP_2)
	v_cmp_ne_u32_e32 vcc_lo, 0, v3
	v_dual_cndmask_b32 v5, v5, v7 :: v_dual_cndmask_b32 v4, v4, v6
.LBB12_15:
	s_and_not1_saveexec_b32 s2, s3
	s_cbranch_execz .LBB12_17
; %bb.16:
	v_cvt_f32_u32_e32 v3, s20
	s_sub_co_i32 s3, 0, s20
	s_delay_alu instid0(VALU_DEP_1) | instskip(SKIP_1) | instid1(TRANS32_DEP_1)
	v_rcp_iflag_f32_e32 v3, v3
	v_nop
	v_mul_f32_e32 v3, 0x4f7ffffe, v3
	s_delay_alu instid0(VALU_DEP_1) | instskip(NEXT) | instid1(VALU_DEP_1)
	v_cvt_u32_f32_e32 v3, v3
	v_mul_lo_u32 v4, s3, v3
	s_delay_alu instid0(VALU_DEP_1) | instskip(NEXT) | instid1(VALU_DEP_1)
	v_mul_hi_u32 v4, v3, v4
	v_add_nc_u32_e32 v3, v3, v4
	s_delay_alu instid0(VALU_DEP_1) | instskip(NEXT) | instid1(VALU_DEP_1)
	v_mul_hi_u32 v3, v0, v3
	v_mul_lo_u32 v4, v3, s20
	s_delay_alu instid0(VALU_DEP_1) | instskip(NEXT) | instid1(VALU_DEP_1)
	v_dual_add_nc_u32 v5, 1, v3 :: v_dual_sub_nc_u32 v4, v0, v4
	v_subrev_nc_u32_e32 v6, s20, v4
	v_cmp_le_u32_e32 vcc_lo, s20, v4
	s_delay_alu instid0(VALU_DEP_2) | instskip(NEXT) | instid1(VALU_DEP_1)
	v_dual_cndmask_b32 v4, v4, v6 :: v_dual_cndmask_b32 v3, v3, v5
	v_cmp_le_u32_e32 vcc_lo, s20, v4
	s_delay_alu instid0(VALU_DEP_2) | instskip(NEXT) | instid1(VALU_DEP_1)
	v_add_nc_u32_e32 v5, 1, v3
	v_dual_cndmask_b32 v4, v3, v5 :: v_dual_mov_b32 v5, 0
.LBB12_17:
	s_or_b32 exec_lo, exec_lo, s2
	s_delay_alu instid0(VALU_DEP_1) | instskip(SKIP_1) | instid1(VALU_DEP_1)
	v_dual_mov_b32 v8, 0 :: v_dual_bitop2_b32 v9, s19, v5 bitop3:0x54
                                        ; implicit-def: $vgpr6_vgpr7
	s_mov_b32 s2, exec_lo
	v_cmpx_ne_u64_e32 0, v[8:9]
	s_xor_b32 s3, exec_lo, s2
	s_cbranch_execnz .LBB12_20
; %bb.18:
	s_and_not1_saveexec_b32 s2, s3
	s_cbranch_execnz .LBB12_21
.LBB12_19:
	s_or_b32 exec_lo, exec_lo, s2
	s_cmp_eq_u64 s[6:7], 0
	s_cbranch_scc0 .LBB12_22
	s_branch .LBB12_44
.LBB12_20:
	s_cvt_f32_u32 s2, s18
	s_cvt_f32_u32 s16, s19
	s_sub_nc_u64 s[26:27], 0, s[18:19]
	s_mov_b32 s31, 0
	v_dual_mov_b32 v6, v4 :: v_dual_mov_b32 v7, v8
	s_fmamk_f32 s2, s16, 0x4f800000, s2
	v_dual_mov_b32 v10, v5 :: v_dual_mov_b32 v11, v8
	v_dual_mov_b32 v15, v8 :: v_dual_mov_b32 v9, v8
	s_delay_alu instid0(SALU_CYCLE_1) | instskip(NEXT) | instid1(TRANS32_DEP_1)
	v_s_rcp_f32 s2, s2
	s_mul_f32 s2, s2, 0x5f7ffffc
	s_delay_alu instid0(SALU_CYCLE_3) | instskip(NEXT) | instid1(SALU_CYCLE_3)
	s_mul_f32 s16, s2, 0x2f800000
	s_trunc_f32 s16, s16
	s_delay_alu instid0(SALU_CYCLE_3) | instskip(SKIP_1) | instid1(SALU_CYCLE_2)
	s_fmamk_f32 s2, s16, 0xcf800000, s2
	s_cvt_u32_f32 s17, s16
	s_cvt_u32_f32 s16, s2
	s_delay_alu instid0(SALU_CYCLE_3) | instskip(NEXT) | instid1(SALU_CYCLE_1)
	s_mul_u64 s[28:29], s[26:27], s[16:17]
	s_mul_hi_u32 s35, s16, s29
	s_mul_i32 s34, s16, s29
	s_mul_hi_u32 s30, s16, s28
	s_mul_i32 s33, s17, s28
	s_add_nc_u64 s[34:35], s[30:31], s[34:35]
	s_mul_hi_u32 s2, s17, s28
	s_mul_hi_u32 s36, s17, s29
	s_mul_i32 s28, s17, s29
	s_add_co_u32 s29, s34, s33
	s_add_co_ci_u32 s30, s35, s2
	s_add_co_ci_u32 s29, s36, 0
	s_delay_alu instid0(SALU_CYCLE_1) | instskip(NEXT) | instid1(SALU_CYCLE_1)
	s_add_nc_u64 s[28:29], s[30:31], s[28:29]
	s_add_co_u32 s16, s16, s28
	s_cselect_b32 s2, -1, 0
	s_delay_alu instid0(SALU_CYCLE_1) | instskip(SKIP_1) | instid1(SALU_CYCLE_1)
	s_cmp_lg_u32 s2, 0
	s_add_co_ci_u32 s17, s17, s29
	s_mul_u64 s[26:27], s[26:27], s[16:17]
	s_delay_alu instid0(SALU_CYCLE_1)
	s_mul_hi_u32 s29, s16, s27
	s_mul_i32 s28, s16, s27
	s_mul_hi_u32 s30, s16, s26
	s_mul_i32 s33, s17, s26
	s_add_nc_u64 s[28:29], s[30:31], s[28:29]
	s_mul_hi_u32 s2, s17, s26
	s_mul_hi_u32 s34, s17, s27
	s_mul_i32 s26, s17, s27
	s_add_co_u32 s27, s28, s33
	s_add_co_ci_u32 s30, s29, s2
	s_add_co_ci_u32 s27, s34, 0
	s_delay_alu instid0(SALU_CYCLE_1) | instskip(NEXT) | instid1(SALU_CYCLE_1)
	s_add_nc_u64 s[26:27], s[30:31], s[26:27]
	s_add_co_u32 s2, s16, s26
	s_cselect_b32 s16, -1, 0
	v_nop
	v_mul_hi_u32 v14, v4, s2
	s_cmp_lg_u32 s16, 0
	s_add_co_ci_u32 s30, s17, s27
	s_mov_b64 s[16:17], 0xffffffff
	v_mul_u64_e32 v[6:7], s[30:31], v[6:7]
	s_and_b64 s[16:17], s[2:3], s[16:17]
	s_delay_alu instid0(SALU_CYCLE_1) | instskip(SKIP_1) | instid1(VALU_DEP_3)
	v_mul_u64_e32 v[12:13], s[16:17], v[10:11]
	v_mul_u64_e32 v[10:11], s[30:31], v[10:11]
	v_add_nc_u64_e32 v[6:7], v[14:15], v[6:7]
	s_delay_alu instid0(VALU_DEP_1) | instskip(NEXT) | instid1(VALU_DEP_2)
	v_add_co_u32 v3, vcc_lo, v6, v12
	v_add_co_ci_u32_e32 v8, vcc_lo, v7, v13, vcc_lo
	s_delay_alu instid0(VALU_DEP_4) | instskip(NEXT) | instid1(VALU_DEP_1)
	v_add_co_ci_u32_e32 v11, vcc_lo, 0, v11, vcc_lo
	v_add_nc_u64_e32 v[6:7], v[8:9], v[10:11]
	s_delay_alu instid0(VALU_DEP_1) | instskip(NEXT) | instid1(VALU_DEP_1)
	v_mul_u64_e32 v[6:7], s[18:19], v[6:7]
	v_sub_nc_u32_e32 v3, v5, v7
	s_delay_alu instid0(VALU_DEP_2) | instskip(NEXT) | instid1(VALU_DEP_1)
	v_sub_co_u32 v6, vcc_lo, v4, v6
	v_sub_co_ci_u32_e64 v5, null, v5, v7, vcc_lo
	s_delay_alu instid0(VALU_DEP_3) | instskip(NEXT) | instid1(VALU_DEP_3)
	v_subrev_co_ci_u32_e64 v3, null, s19, v3, vcc_lo
	v_sub_co_u32 v7, vcc_lo, v6, s18
	v_cmp_le_u32_e64 s2, s18, v6
	s_delay_alu instid0(VALU_DEP_3) | instskip(SKIP_1) | instid1(VALU_DEP_3)
	v_subrev_co_ci_u32_e64 v8, null, 0, v3, vcc_lo
	v_subrev_co_ci_u32_e64 v3, null, s19, v3, vcc_lo
	v_cndmask_b32_e64 v9, 0, -1, s2
	v_cmp_le_u32_e64 s2, s18, v7
	v_cmp_le_u32_e32 vcc_lo, s19, v5
	s_delay_alu instid0(VALU_DEP_2) | instskip(SKIP_3) | instid1(VALU_DEP_3)
	v_cndmask_b32_e64 v10, 0, -1, s2
	v_cmp_le_u32_e64 s2, s19, v8
	v_cndmask_b32_e64 v12, 0, -1, vcc_lo
	v_cmp_eq_u32_e32 vcc_lo, s19, v8
	v_cndmask_b32_e64 v11, 0, -1, s2
	s_delay_alu instid0(VALU_DEP_1) | instskip(SKIP_1) | instid1(VALU_DEP_1)
	v_cndmask_b32_e32 v8, v11, v10, vcc_lo
	v_sub_co_u32 v10, vcc_lo, v7, s18
	v_subrev_co_ci_u32_e64 v3, null, 0, v3, vcc_lo
	v_cmp_eq_u32_e32 vcc_lo, s19, v5
	v_cndmask_b32_e32 v3, v12, v9, vcc_lo
	v_cmp_ne_u32_e32 vcc_lo, 0, v8
	v_cndmask_b32_e32 v5, v7, v10, vcc_lo
	s_delay_alu instid0(VALU_DEP_3) | instskip(NEXT) | instid1(VALU_DEP_2)
	v_cmp_ne_u32_e32 vcc_lo, 0, v3
	v_cndmask_b32_e32 v6, v6, v5, vcc_lo
	s_and_not1_saveexec_b32 s2, s3
	s_cbranch_execz .LBB12_19
.LBB12_21:
	v_cvt_f32_u32_e32 v3, s18
	s_sub_co_i32 s3, 0, s18
	s_delay_alu instid0(VALU_DEP_1) | instskip(SKIP_1) | instid1(TRANS32_DEP_1)
	v_rcp_iflag_f32_e32 v3, v3
	v_nop
	v_mul_f32_e32 v3, 0x4f7ffffe, v3
	s_delay_alu instid0(VALU_DEP_1) | instskip(NEXT) | instid1(VALU_DEP_1)
	v_cvt_u32_f32_e32 v3, v3
	v_mul_lo_u32 v5, s3, v3
	s_delay_alu instid0(VALU_DEP_1) | instskip(NEXT) | instid1(VALU_DEP_1)
	v_mul_hi_u32 v5, v3, v5
	v_add_nc_u32_e32 v3, v3, v5
	s_delay_alu instid0(VALU_DEP_1) | instskip(NEXT) | instid1(VALU_DEP_1)
	v_mul_hi_u32 v3, v4, v3
	v_mul_lo_u32 v3, v3, s18
	s_delay_alu instid0(VALU_DEP_1) | instskip(NEXT) | instid1(VALU_DEP_1)
	v_sub_nc_u32_e32 v3, v4, v3
	v_subrev_nc_u32_e32 v5, s18, v3
	v_cmp_le_u32_e32 vcc_lo, s18, v3
	s_delay_alu instid0(VALU_DEP_2) | instskip(NEXT) | instid1(VALU_DEP_1)
	v_cndmask_b32_e32 v3, v3, v5, vcc_lo
	v_subrev_nc_u32_e32 v5, s18, v3
	v_cmp_le_u32_e32 vcc_lo, s18, v3
	s_delay_alu instid0(VALU_DEP_2)
	v_cndmask_b32_e32 v6, v3, v5, vcc_lo
	s_or_b32 exec_lo, exec_lo, s2
	s_cmp_eq_u64 s[6:7], 0
	s_cbranch_scc1 .LBB12_44
.LBB12_22:
	s_mul_u64 s[16:17], s[24:25], s[20:21]
                                        ; implicit-def: $vgpr10_vgpr11
	s_mov_b32 s2, exec_lo
	v_dual_mov_b32 v8, 0 :: v_dual_bitop2_b32 v9, s17, v1 bitop3:0x54
	s_delay_alu instid0(VALU_DEP_1)
	v_cmpx_ne_u64_e32 0, v[8:9]
	s_xor_b32 s3, exec_lo, s2
	s_cbranch_execz .LBB12_24
; %bb.23:
	s_ashr_i32 s18, s17, 31
	s_mov_b32 s35, 0
	s_mov_b32 s19, s18
	v_dual_mov_b32 v15, v8 :: v_dual_ashrrev_i32 v10, 31, v1
	s_add_nc_u64 s[24:25], s[16:17], s[18:19]
	v_dual_mov_b32 v23, v8 :: v_dual_mov_b32 v9, v8
	s_xor_b64 s[24:25], s[24:25], s[18:19]
	s_delay_alu instid0(VALU_DEP_2) | instskip(SKIP_3) | instid1(VALU_DEP_1)
	v_mov_b32_e32 v11, v10
	s_cvt_f32_u32 s2, s24
	s_cvt_f32_u32 s19, s25
	s_sub_nc_u64 s[28:29], 0, s[24:25]
	v_add_nc_u64_e32 v[12:13], v[0:1], v[10:11]
	s_delay_alu instid0(SALU_CYCLE_1) | instskip(SKIP_1) | instid1(SALU_CYCLE_2)
	s_fmamk_f32 s2, s19, 0x4f800000, s2
	v_mov_b32_e32 v17, v8
	v_s_rcp_f32 s2, s2
	s_delay_alu instid0(VALU_DEP_2) | instskip(NEXT) | instid1(VALU_DEP_3)
	v_xor_b32_e32 v14, v12, v10
	v_xor_b32_e32 v16, v13, v10
	;; [unrolled: 1-line block ×3, first 2 shown]
	s_delay_alu instid0(TRANS32_DEP_1) | instskip(NEXT) | instid1(SALU_CYCLE_3)
	s_mul_f32 s2, s2, 0x5f7ffffc
	s_mul_f32 s19, s2, 0x2f800000
	s_delay_alu instid0(SALU_CYCLE_3) | instskip(NEXT) | instid1(SALU_CYCLE_3)
	s_trunc_f32 s19, s19
	s_fmamk_f32 s2, s19, 0xcf800000, s2
	s_cvt_u32_f32 s27, s19
	s_delay_alu instid0(SALU_CYCLE_2) | instskip(NEXT) | instid1(SALU_CYCLE_3)
	s_cvt_u32_f32 s26, s2
	s_mul_u64 s[30:31], s[28:29], s[26:27]
	s_delay_alu instid0(SALU_CYCLE_1)
	s_mul_hi_u32 s37, s26, s31
	s_mul_i32 s36, s26, s31
	s_mul_hi_u32 s34, s26, s30
	s_mul_i32 s19, s27, s30
	s_add_nc_u64 s[36:37], s[34:35], s[36:37]
	s_mul_hi_u32 s2, s27, s30
	s_mul_hi_u32 s21, s27, s31
	s_add_co_u32 s19, s36, s19
	s_add_co_ci_u32 s34, s37, s2
	s_mul_i32 s30, s27, s31
	s_add_co_ci_u32 s31, s21, 0
	s_delay_alu instid0(SALU_CYCLE_1) | instskip(NEXT) | instid1(SALU_CYCLE_1)
	s_add_nc_u64 s[30:31], s[34:35], s[30:31]
	s_add_co_u32 s26, s26, s30
	s_cselect_b32 s2, -1, 0
	s_delay_alu instid0(SALU_CYCLE_1) | instskip(SKIP_1) | instid1(SALU_CYCLE_1)
	s_cmp_lg_u32 s2, 0
	s_add_co_ci_u32 s27, s27, s31
	s_mul_u64 s[28:29], s[28:29], s[26:27]
	s_delay_alu instid0(SALU_CYCLE_1)
	s_mul_hi_u32 s31, s26, s29
	s_mul_i32 s30, s26, s29
	s_mul_hi_u32 s34, s26, s28
	s_mul_i32 s19, s27, s28
	s_add_nc_u64 s[30:31], s[34:35], s[30:31]
	s_mul_hi_u32 s2, s27, s28
	s_mul_hi_u32 s21, s27, s29
	s_add_co_u32 s19, s30, s19
	s_add_co_ci_u32 s34, s31, s2
	s_mul_i32 s28, s27, s29
	s_add_co_ci_u32 s29, s21, 0
	s_delay_alu instid0(SALU_CYCLE_1) | instskip(NEXT) | instid1(SALU_CYCLE_1)
	s_add_nc_u64 s[28:29], s[34:35], s[28:29]
	s_add_co_u32 s2, s26, s28
	s_cselect_b32 s19, -1, 0
	v_mul_hi_u32 v22, v14, s2
	s_cmp_lg_u32 s19, 0
	s_add_co_ci_u32 s34, s27, s29
	s_mov_b64 s[26:27], 0xffffffff
	v_mul_u64_e32 v[18:19], s[34:35], v[14:15]
	s_and_b64 s[26:27], s[2:3], s[26:27]
	v_mul_u64_e32 v[20:21], s[34:35], v[16:17]
	v_mul_u64_e32 v[12:13], s[26:27], v[16:17]
	s_delay_alu instid0(VALU_DEP_3) | instskip(NEXT) | instid1(VALU_DEP_1)
	v_add_nc_u64_e32 v[18:19], v[22:23], v[18:19]
	v_add_co_u32 v3, vcc_lo, v18, v12
	s_delay_alu instid0(VALU_DEP_2) | instskip(SKIP_1) | instid1(VALU_DEP_1)
	v_add_co_ci_u32_e32 v8, vcc_lo, v19, v13, vcc_lo
	v_add_co_ci_u32_e32 v21, vcc_lo, 0, v21, vcc_lo
	v_add_nc_u64_e32 v[8:9], v[8:9], v[20:21]
	s_delay_alu instid0(VALU_DEP_1) | instskip(NEXT) | instid1(VALU_DEP_1)
	v_mul_u64_e32 v[12:13], s[24:25], v[8:9]
	v_sub_co_u32 v5, vcc_lo, v14, v12
	v_add_nc_u64_e32 v[14:15], 1, v[8:9]
	s_delay_alu instid0(VALU_DEP_3) | instskip(SKIP_1) | instid1(VALU_DEP_4)
	v_sub_nc_u32_e32 v3, v16, v13
	v_sub_co_ci_u32_e64 v11, null, v16, v13, vcc_lo
	v_sub_co_u32 v7, s2, v5, s24
	s_delay_alu instid0(VALU_DEP_3) | instskip(NEXT) | instid1(VALU_DEP_2)
	v_subrev_co_ci_u32_e64 v3, null, s25, v3, vcc_lo
	v_cmp_le_u32_e32 vcc_lo, s24, v7
	s_delay_alu instid0(VALU_DEP_2) | instskip(SKIP_1) | instid1(VALU_DEP_2)
	v_subrev_co_ci_u32_e64 v3, null, 0, v3, s2
	v_cndmask_b32_e64 v7, 0, -1, vcc_lo
	v_cmp_le_u32_e32 vcc_lo, s25, v3
	v_cndmask_b32_e64 v12, 0, -1, vcc_lo
	v_cmp_le_u32_e32 vcc_lo, s24, v5
	;; [unrolled: 2-line block ×3, first 2 shown]
	v_cndmask_b32_e64 v16, 0, -1, vcc_lo
	v_cmp_eq_u32_e32 vcc_lo, s25, v3
	v_cndmask_b32_e32 v3, v12, v7, vcc_lo
	v_cmp_eq_u32_e32 vcc_lo, s25, v11
	v_add_nc_u64_e32 v[12:13], 2, v[8:9]
	v_dual_mov_b32 v11, v10 :: v_dual_cndmask_b32 v5, v16, v5, vcc_lo
	s_delay_alu instid0(VALU_DEP_4) | instskip(NEXT) | instid1(VALU_DEP_2)
	v_cmp_ne_u32_e32 vcc_lo, 0, v3
	v_cmp_ne_u32_e64 s2, 0, v5
	s_delay_alu instid0(VALU_DEP_4) | instskip(NEXT) | instid1(VALU_DEP_1)
	v_dual_cndmask_b32 v3, v15, v13, vcc_lo :: v_dual_cndmask_b32 v5, v14, v12, vcc_lo
	v_dual_cndmask_b32 v3, v9, v3, s2 :: v_dual_cndmask_b32 v5, v8, v5, s2
	s_delay_alu instid0(VALU_DEP_1) | instskip(NEXT) | instid1(VALU_DEP_2)
	v_xor_b32_e32 v9, v3, v10
	v_xor_b32_e32 v8, v5, v10
	s_delay_alu instid0(VALU_DEP_1)
	v_sub_nc_u64_e32 v[10:11], v[8:9], v[10:11]
.LBB12_24:
	s_and_not1_saveexec_b32 s2, s3
	s_cbranch_execz .LBB12_26
; %bb.25:
	v_cvt_f32_u32_e32 v3, s16
	s_sub_co_i32 s3, 0, s16
	v_mov_b32_e32 v11, 0
	s_delay_alu instid0(VALU_DEP_2) | instskip(SKIP_1) | instid1(TRANS32_DEP_1)
	v_rcp_iflag_f32_e32 v3, v3
	v_nop
	v_mul_f32_e32 v3, 0x4f7ffffe, v3
	s_delay_alu instid0(VALU_DEP_1) | instskip(NEXT) | instid1(VALU_DEP_1)
	v_cvt_u32_f32_e32 v3, v3
	v_mul_lo_u32 v5, s3, v3
	s_delay_alu instid0(VALU_DEP_1) | instskip(NEXT) | instid1(VALU_DEP_1)
	v_mul_hi_u32 v5, v3, v5
	v_add_nc_u32_e32 v3, v3, v5
	s_delay_alu instid0(VALU_DEP_1) | instskip(NEXT) | instid1(VALU_DEP_1)
	v_mul_hi_u32 v3, v0, v3
	v_mul_lo_u32 v5, v3, s16
	s_delay_alu instid0(VALU_DEP_1) | instskip(NEXT) | instid1(VALU_DEP_1)
	v_sub_nc_u32_e32 v5, v0, v5
	v_subrev_nc_u32_e32 v8, s16, v5
	v_cmp_le_u32_e32 vcc_lo, s16, v5
	s_delay_alu instid0(VALU_DEP_2) | instskip(NEXT) | instid1(VALU_DEP_1)
	v_dual_add_nc_u32 v7, 1, v3 :: v_dual_cndmask_b32 v5, v5, v8, vcc_lo
	v_cndmask_b32_e32 v3, v3, v7, vcc_lo
	s_delay_alu instid0(VALU_DEP_2) | instskip(NEXT) | instid1(VALU_DEP_2)
	v_cmp_le_u32_e32 vcc_lo, s16, v5
	v_add_nc_u32_e32 v7, 1, v3
	s_delay_alu instid0(VALU_DEP_1)
	v_cndmask_b32_e32 v10, v3, v7, vcc_lo
.LBB12_26:
	s_or_b32 exec_lo, exec_lo, s2
	s_delay_alu instid0(VALU_DEP_1) | instskip(SKIP_1) | instid1(VALU_DEP_1)
	v_dual_mov_b32 v12, 0 :: v_dual_bitop2_b32 v13, s9, v11 bitop3:0x54
                                        ; implicit-def: $vgpr8_vgpr9
	s_mov_b32 s2, exec_lo
	v_cmpx_ne_u64_e32 0, v[12:13]
	s_xor_b32 s3, exec_lo, s2
	s_cbranch_execz .LBB12_28
; %bb.27:
	s_cvt_f32_u32 s2, s8
	s_cvt_f32_u32 s18, s9
	s_sub_nc_u64 s[24:25], 0, s[8:9]
	s_mov_b32 s29, 0
	v_dual_mov_b32 v8, v10 :: v_dual_mov_b32 v9, v12
	s_fmamk_f32 s2, s18, 0x4f800000, s2
	v_dual_mov_b32 v14, v11 :: v_dual_mov_b32 v15, v12
	v_dual_mov_b32 v19, v12 :: v_dual_mov_b32 v13, v12
	s_delay_alu instid0(SALU_CYCLE_1) | instskip(NEXT) | instid1(TRANS32_DEP_1)
	v_s_rcp_f32 s2, s2
	s_mul_f32 s2, s2, 0x5f7ffffc
	s_delay_alu instid0(SALU_CYCLE_3) | instskip(NEXT) | instid1(SALU_CYCLE_3)
	s_mul_f32 s18, s2, 0x2f800000
	s_trunc_f32 s18, s18
	s_delay_alu instid0(SALU_CYCLE_3) | instskip(SKIP_1) | instid1(SALU_CYCLE_2)
	s_fmamk_f32 s2, s18, 0xcf800000, s2
	s_cvt_u32_f32 s19, s18
	s_cvt_u32_f32 s18, s2
	s_delay_alu instid0(SALU_CYCLE_3) | instskip(NEXT) | instid1(SALU_CYCLE_1)
	s_mul_u64 s[26:27], s[24:25], s[18:19]
	s_mul_hi_u32 s31, s18, s27
	s_mul_i32 s30, s18, s27
	s_mul_hi_u32 s28, s18, s26
	s_mul_i32 s21, s19, s26
	s_add_nc_u64 s[30:31], s[28:29], s[30:31]
	s_mul_hi_u32 s2, s19, s26
	s_mul_hi_u32 s33, s19, s27
	s_add_co_u32 s21, s30, s21
	s_add_co_ci_u32 s28, s31, s2
	s_mul_i32 s26, s19, s27
	s_add_co_ci_u32 s27, s33, 0
	s_delay_alu instid0(SALU_CYCLE_1) | instskip(NEXT) | instid1(SALU_CYCLE_1)
	s_add_nc_u64 s[26:27], s[28:29], s[26:27]
	s_add_co_u32 s18, s18, s26
	s_cselect_b32 s2, -1, 0
	s_delay_alu instid0(SALU_CYCLE_1) | instskip(SKIP_1) | instid1(SALU_CYCLE_1)
	s_cmp_lg_u32 s2, 0
	s_add_co_ci_u32 s19, s19, s27
	s_mul_u64 s[24:25], s[24:25], s[18:19]
	s_delay_alu instid0(SALU_CYCLE_1)
	s_mul_hi_u32 s27, s18, s25
	s_mul_i32 s26, s18, s25
	s_mul_hi_u32 s28, s18, s24
	s_mul_i32 s21, s19, s24
	s_add_nc_u64 s[26:27], s[28:29], s[26:27]
	s_mul_hi_u32 s2, s19, s24
	s_mul_hi_u32 s30, s19, s25
	s_add_co_u32 s21, s26, s21
	s_add_co_ci_u32 s28, s27, s2
	s_mul_i32 s24, s19, s25
	s_add_co_ci_u32 s25, s30, 0
	s_delay_alu instid0(SALU_CYCLE_1) | instskip(NEXT) | instid1(SALU_CYCLE_1)
	s_add_nc_u64 s[24:25], s[28:29], s[24:25]
	s_add_co_u32 s2, s18, s24
	s_cselect_b32 s18, -1, 0
	v_nop
	v_mul_hi_u32 v18, v10, s2
	s_cmp_lg_u32 s18, 0
	s_add_co_ci_u32 s28, s19, s25
	s_mov_b64 s[18:19], 0xffffffff
	v_mul_u64_e32 v[8:9], s[28:29], v[8:9]
	s_and_b64 s[18:19], s[2:3], s[18:19]
	s_delay_alu instid0(SALU_CYCLE_1) | instskip(SKIP_1) | instid1(VALU_DEP_3)
	v_mul_u64_e32 v[16:17], s[18:19], v[14:15]
	v_mul_u64_e32 v[14:15], s[28:29], v[14:15]
	v_add_nc_u64_e32 v[8:9], v[18:19], v[8:9]
	s_delay_alu instid0(VALU_DEP_1) | instskip(NEXT) | instid1(VALU_DEP_2)
	v_add_co_u32 v3, vcc_lo, v8, v16
	v_add_co_ci_u32_e32 v12, vcc_lo, v9, v17, vcc_lo
	s_delay_alu instid0(VALU_DEP_4) | instskip(NEXT) | instid1(VALU_DEP_1)
	v_add_co_ci_u32_e32 v15, vcc_lo, 0, v15, vcc_lo
	v_add_nc_u64_e32 v[8:9], v[12:13], v[14:15]
	s_delay_alu instid0(VALU_DEP_1) | instskip(NEXT) | instid1(VALU_DEP_1)
	v_mul_u64_e32 v[8:9], s[8:9], v[8:9]
	v_sub_nc_u32_e32 v3, v11, v9
	s_delay_alu instid0(VALU_DEP_2) | instskip(NEXT) | instid1(VALU_DEP_1)
	v_sub_co_u32 v5, vcc_lo, v10, v8
	v_sub_co_ci_u32_e64 v7, null, v11, v9, vcc_lo
	s_delay_alu instid0(VALU_DEP_3) | instskip(NEXT) | instid1(VALU_DEP_3)
	v_subrev_co_ci_u32_e64 v3, null, s9, v3, vcc_lo
	v_sub_co_u32 v8, vcc_lo, v5, s8
	v_cmp_le_u32_e64 s2, s8, v5
	s_delay_alu instid0(VALU_DEP_3) | instskip(SKIP_1) | instid1(VALU_DEP_3)
	v_subrev_co_ci_u32_e64 v9, null, 0, v3, vcc_lo
	v_subrev_co_ci_u32_e64 v3, null, s9, v3, vcc_lo
	v_cndmask_b32_e64 v10, 0, -1, s2
	v_cmp_le_u32_e64 s2, s8, v8
	v_cmp_le_u32_e32 vcc_lo, s9, v7
	s_delay_alu instid0(VALU_DEP_2) | instskip(SKIP_3) | instid1(VALU_DEP_3)
	v_cndmask_b32_e64 v11, 0, -1, s2
	v_cmp_le_u32_e64 s2, s9, v9
	v_cndmask_b32_e64 v13, 0, -1, vcc_lo
	v_cmp_eq_u32_e32 vcc_lo, s9, v9
	v_cndmask_b32_e64 v12, 0, -1, s2
	s_delay_alu instid0(VALU_DEP_1) | instskip(SKIP_1) | instid1(VALU_DEP_1)
	v_cndmask_b32_e32 v9, v12, v11, vcc_lo
	v_sub_co_u32 v11, vcc_lo, v8, s8
	v_subrev_co_ci_u32_e64 v3, null, 0, v3, vcc_lo
	v_cmp_eq_u32_e32 vcc_lo, s9, v7
	v_cndmask_b32_e32 v3, v13, v10, vcc_lo
	v_cmp_ne_u32_e32 vcc_lo, 0, v9
	v_cndmask_b32_e32 v7, v8, v11, vcc_lo
	s_delay_alu instid0(VALU_DEP_3) | instskip(NEXT) | instid1(VALU_DEP_2)
	v_cmp_ne_u32_e32 vcc_lo, 0, v3
                                        ; implicit-def: $vgpr10_vgpr11
	v_cndmask_b32_e32 v8, v5, v7, vcc_lo
.LBB12_28:
	s_and_not1_saveexec_b32 s2, s3
	s_cbranch_execz .LBB12_30
; %bb.29:
	v_cvt_f32_u32_e32 v3, s8
	s_sub_co_i32 s3, 0, s8
	s_delay_alu instid0(VALU_DEP_1) | instskip(SKIP_1) | instid1(TRANS32_DEP_1)
	v_rcp_iflag_f32_e32 v3, v3
	v_nop
	v_mul_f32_e32 v3, 0x4f7ffffe, v3
	s_delay_alu instid0(VALU_DEP_1) | instskip(NEXT) | instid1(VALU_DEP_1)
	v_cvt_u32_f32_e32 v3, v3
	v_mul_lo_u32 v5, s3, v3
	s_delay_alu instid0(VALU_DEP_1) | instskip(NEXT) | instid1(VALU_DEP_1)
	v_mul_hi_u32 v5, v3, v5
	v_add_nc_u32_e32 v3, v3, v5
	s_delay_alu instid0(VALU_DEP_1) | instskip(NEXT) | instid1(VALU_DEP_1)
	v_mul_hi_u32 v3, v10, v3
	v_mul_lo_u32 v3, v3, s8
	s_delay_alu instid0(VALU_DEP_1) | instskip(NEXT) | instid1(VALU_DEP_1)
	v_sub_nc_u32_e32 v3, v10, v3
	v_subrev_nc_u32_e32 v5, s8, v3
	v_cmp_le_u32_e32 vcc_lo, s8, v3
	s_delay_alu instid0(VALU_DEP_2) | instskip(NEXT) | instid1(VALU_DEP_1)
	v_cndmask_b32_e32 v3, v3, v5, vcc_lo
	v_subrev_nc_u32_e32 v5, s8, v3
	v_cmp_le_u32_e32 vcc_lo, s8, v3
	s_delay_alu instid0(VALU_DEP_2)
	v_cndmask_b32_e32 v8, v3, v5, vcc_lo
.LBB12_30:
	s_or_b32 exec_lo, exec_lo, s2
	v_mul_lo_u32 v3, v4, s20
	s_load_b96 s[0:2], s[0:1], 0x50
	v_add_nc_u32_e32 v4, 1, v6
	v_cvt_f32_i32_e32 v6, v6
	s_mul_u64 s[18:19], s[14:15], s[12:13]
	s_delay_alu instid0(VALU_DEP_3) | instskip(SKIP_3) | instid1(VALU_DEP_4)
	v_dual_ashrrev_i32 v9, 31, v8 :: v_dual_sub_nc_u32 v3, v0, v3
	v_add_nc_u32_e32 v5, 1, v2
	v_cvt_f32_i32_e32 v2, v2
	v_cvt_f32_i32_e32 v4, v4
	v_add_nc_u32_e32 v7, 1, v3
	s_delay_alu instid0(VALU_DEP_4) | instskip(SKIP_2) | instid1(VALU_DEP_2)
	v_cvt_f32_i32_e32 v5, v5
	v_cvt_f32_i32_e32 v3, v3
	s_wait_kmcnt 0x0
	v_dual_mul_f32 v2, s0, v2 :: v_dual_mul_f32 v5, s0, v5
	v_dual_mul_f32 v6, s1, v6 :: v_dual_mul_f32 v4, s1, v4
	v_cvt_f32_i32_e32 v7, v7
	s_delay_alu instid0(VALU_DEP_3) | instskip(NEXT) | instid1(VALU_DEP_4)
	v_ceil_f32_e32 v2, v2
	v_ceil_f32_e32 v5, v5
	s_delay_alu instid0(VALU_DEP_4) | instskip(SKIP_1) | instid1(VALU_DEP_4)
	v_ceil_f32_e32 v6, v6
	v_ceil_f32_e32 v4, v4
	v_cvt_i32_f32_e32 v2, v2
	s_delay_alu instid0(VALU_DEP_4)
	v_cvt_i32_f32_e32 v5, v5
	v_mul_f32_e32 v7, s2, v7
	v_cvt_i32_f32_e32 v6, v6
	v_mul_f32_e32 v3, s2, v3
	v_cvt_i32_f32_e32 v4, v4
	v_min_i32_e32 v17, s10, v5
	v_ceil_f32_e32 v7, v7
	v_min_i32_e32 v16, s12, v6
	v_ceil_f32_e32 v3, v3
	v_min_i32_e32 v18, s12, v4
	v_min_i32_e32 v20, s10, v2
	v_cvt_i32_f32_e32 v7, v7
	v_cmp_gt_i32_e64 s0, v17, v2
	v_cvt_i32_f32_e32 v3, v3
	v_cmp_gt_i32_e64 s1, v18, v6
	s_mul_u64 s[10:11], s[18:19], s[10:11]
	v_min_i32_e32 v19, s14, v7
	s_mul_u64 s[12:13], s[16:17], s[8:9]
	v_min_i32_e32 v21, s14, v3
	s_mov_b64 s[16:17], 0
	s_delay_alu instid0(VALU_DEP_2)
	v_cmp_gt_i32_e64 s2, v19, v3
	s_branch .LBB12_33
.LBB12_31:                              ;   in Loop: Header=BB12_33 Depth=1
	s_or_b32 exec_lo, exec_lo, s20
	v_cvt_f16_f32_e32 v2, v22
.LBB12_32:                              ;   in Loop: Header=BB12_33 Depth=1
	s_or_b32 exec_lo, exec_lo, s3
	s_add_nc_u64 s[16:17], s[16:17], 1
	v_lshl_add_u64 v[4:5], v[0:1], 1, s[22:23]
	v_cmp_le_u64_e64 s3, s[6:7], s[16:17]
	v_add_nc_u64_e32 v[0:1], s[12:13], v[0:1]
	global_store_b16 v[4:5], v2, off
	s_and_b32 vcc_lo, exec_lo, s3
	s_cbranch_vccnz .LBB12_44
.LBB12_33:                              ; =>This Loop Header: Depth=1
                                        ;     Child Loop BB12_37 Depth 2
                                        ;       Child Loop BB12_40 Depth 3
                                        ;         Child Loop BB12_42 Depth 4
	s_wait_xcnt 0x0
	v_mov_b32_e32 v2, 0
	s_and_saveexec_b32 s3, s0
	s_cbranch_execz .LBB12_32
; %bb.34:                               ;   in Loop: Header=BB12_33 Depth=1
	v_mad_nc_u64_u32 v[2:3], s16, s8, v[8:9]
	s_mul_i32 s20, s17, s8
	s_mul_i32 s21, s16, s9
	v_dual_mov_b32 v22, 0 :: v_dual_mov_b32 v4, v20
	s_delay_alu instid0(VALU_DEP_2) | instskip(SKIP_1) | instid1(VALU_DEP_1)
	v_add3_u32 v3, s21, s20, v3
	s_mov_b32 s20, 0
	v_mul_u64_e32 v[2:3], s[10:11], v[2:3]
	s_delay_alu instid0(VALU_DEP_1)
	v_lshl_add_u64 v[2:3], v[2:3], 1, s[4:5]
	s_branch .LBB12_37
.LBB12_35:                              ;   in Loop: Header=BB12_37 Depth=2
	s_or_b32 exec_lo, exec_lo, s24
.LBB12_36:                              ;   in Loop: Header=BB12_37 Depth=2
	s_delay_alu instid0(SALU_CYCLE_1) | instskip(SKIP_1) | instid1(VALU_DEP_1)
	s_or_b32 exec_lo, exec_lo, s21
	v_add_nc_u32_e32 v4, 1, v4
	v_cmp_ge_i32_e32 vcc_lo, v4, v17
	s_or_b32 s20, vcc_lo, s20
	s_delay_alu instid0(SALU_CYCLE_1)
	s_and_not1_b32 exec_lo, exec_lo, s20
	s_cbranch_execz .LBB12_31
.LBB12_37:                              ;   Parent Loop BB12_33 Depth=1
                                        ; =>  This Loop Header: Depth=2
                                        ;       Child Loop BB12_40 Depth 3
                                        ;         Child Loop BB12_42 Depth 4
	s_and_saveexec_b32 s21, s1
	s_cbranch_execz .LBB12_36
; %bb.38:                               ;   in Loop: Header=BB12_37 Depth=2
	v_dual_mov_b32 v10, v16 :: v_dual_ashrrev_i32 v5, 31, v4
	s_mov_b32 s24, 0
	s_delay_alu instid0(VALU_DEP_1) | instskip(NEXT) | instid1(VALU_DEP_1)
	v_mul_u64_e32 v[6:7], s[18:19], v[4:5]
	v_lshl_add_u64 v[6:7], v[6:7], 1, v[2:3]
	s_branch .LBB12_40
.LBB12_39:                              ;   in Loop: Header=BB12_40 Depth=3
	s_or_b32 exec_lo, exec_lo, s25
	v_add_nc_u32_e32 v10, 1, v10
	s_delay_alu instid0(VALU_DEP_1) | instskip(SKIP_1) | instid1(SALU_CYCLE_1)
	v_cmp_ge_i32_e32 vcc_lo, v10, v18
	s_or_b32 s24, vcc_lo, s24
	s_and_not1_b32 exec_lo, exec_lo, s24
	s_cbranch_execz .LBB12_35
.LBB12_40:                              ;   Parent Loop BB12_33 Depth=1
                                        ;     Parent Loop BB12_37 Depth=2
                                        ; =>    This Loop Header: Depth=3
                                        ;         Child Loop BB12_42 Depth 4
	s_and_saveexec_b32 s25, s2
	s_cbranch_execz .LBB12_39
; %bb.41:                               ;   in Loop: Header=BB12_40 Depth=3
	v_dual_mov_b32 v14, v21 :: v_dual_ashrrev_i32 v11, 31, v10
	s_mov_b32 s26, 0
	s_delay_alu instid0(VALU_DEP_1) | instskip(NEXT) | instid1(VALU_DEP_1)
	v_mul_u64_e32 v[12:13], s[14:15], v[10:11]
	v_lshl_add_u64 v[12:13], v[12:13], 1, v[6:7]
.LBB12_42:                              ;   Parent Loop BB12_33 Depth=1
                                        ;     Parent Loop BB12_37 Depth=2
                                        ;       Parent Loop BB12_40 Depth=3
                                        ; =>      This Inner Loop Header: Depth=4
	s_delay_alu instid0(VALU_DEP_3) | instskip(NEXT) | instid1(VALU_DEP_1)
	v_ashrrev_i32_e32 v15, 31, v14
	v_lshl_add_u64 v[24:25], v[14:15], 1, v[12:13]
	v_add_nc_u32_e32 v14, 1, v14
	global_load_u16 v5, v[24:25], off
	v_cmp_ge_i32_e32 vcc_lo, v14, v19
	s_or_b32 s26, vcc_lo, s26
	s_wait_loadcnt 0x0
	v_cvt_f32_f16_e32 v5, v5
	s_delay_alu instid0(VALU_DEP_1)
	v_add_f32_e32 v22, v22, v5
	s_wait_xcnt 0x0
	s_and_not1_b32 exec_lo, exec_lo, s26
	s_cbranch_execnz .LBB12_42
; %bb.43:                               ;   in Loop: Header=BB12_40 Depth=3
	s_or_b32 exec_lo, exec_lo, s26
	s_branch .LBB12_39
.LBB12_44:
	s_endpgm
	.section	.rodata,"a",@progbits
	.p2align	6, 0x0
	.amdhsa_kernel _ZN2at6native12_GLOBAL__N_137upsample_nearest3d_backward_out_frameIN3c104HalfEfXadL_ZNS0_40nearest_neighbor_bw_compute_source_indexEfiiEEEEvPKT_mmmmmmmmPS5_fff
		.amdhsa_group_segment_fixed_size 0
		.amdhsa_private_segment_fixed_size 0
		.amdhsa_kernarg_size 352
		.amdhsa_user_sgpr_count 2
		.amdhsa_user_sgpr_dispatch_ptr 0
		.amdhsa_user_sgpr_queue_ptr 0
		.amdhsa_user_sgpr_kernarg_segment_ptr 1
		.amdhsa_user_sgpr_dispatch_id 0
		.amdhsa_user_sgpr_kernarg_preload_length 0
		.amdhsa_user_sgpr_kernarg_preload_offset 0
		.amdhsa_user_sgpr_private_segment_size 0
		.amdhsa_wavefront_size32 1
		.amdhsa_uses_dynamic_stack 0
		.amdhsa_enable_private_segment 0
		.amdhsa_system_sgpr_workgroup_id_x 1
		.amdhsa_system_sgpr_workgroup_id_y 0
		.amdhsa_system_sgpr_workgroup_id_z 0
		.amdhsa_system_sgpr_workgroup_info 0
		.amdhsa_system_vgpr_workitem_id 0
		.amdhsa_next_free_vgpr 26
		.amdhsa_next_free_sgpr 39
		.amdhsa_named_barrier_count 0
		.amdhsa_reserve_vcc 1
		.amdhsa_float_round_mode_32 0
		.amdhsa_float_round_mode_16_64 0
		.amdhsa_float_denorm_mode_32 3
		.amdhsa_float_denorm_mode_16_64 3
		.amdhsa_fp16_overflow 0
		.amdhsa_memory_ordered 1
		.amdhsa_forward_progress 1
		.amdhsa_inst_pref_size 45
		.amdhsa_round_robin_scheduling 0
		.amdhsa_exception_fp_ieee_invalid_op 0
		.amdhsa_exception_fp_denorm_src 0
		.amdhsa_exception_fp_ieee_div_zero 0
		.amdhsa_exception_fp_ieee_overflow 0
		.amdhsa_exception_fp_ieee_underflow 0
		.amdhsa_exception_fp_ieee_inexact 0
		.amdhsa_exception_int_div_zero 0
	.end_amdhsa_kernel
	.section	.text._ZN2at6native12_GLOBAL__N_137upsample_nearest3d_backward_out_frameIN3c104HalfEfXadL_ZNS0_40nearest_neighbor_bw_compute_source_indexEfiiEEEEvPKT_mmmmmmmmPS5_fff,"axG",@progbits,_ZN2at6native12_GLOBAL__N_137upsample_nearest3d_backward_out_frameIN3c104HalfEfXadL_ZNS0_40nearest_neighbor_bw_compute_source_indexEfiiEEEEvPKT_mmmmmmmmPS5_fff,comdat
.Lfunc_end12:
	.size	_ZN2at6native12_GLOBAL__N_137upsample_nearest3d_backward_out_frameIN3c104HalfEfXadL_ZNS0_40nearest_neighbor_bw_compute_source_indexEfiiEEEEvPKT_mmmmmmmmPS5_fff, .Lfunc_end12-_ZN2at6native12_GLOBAL__N_137upsample_nearest3d_backward_out_frameIN3c104HalfEfXadL_ZNS0_40nearest_neighbor_bw_compute_source_indexEfiiEEEEvPKT_mmmmmmmmPS5_fff
                                        ; -- End function
	.set _ZN2at6native12_GLOBAL__N_137upsample_nearest3d_backward_out_frameIN3c104HalfEfXadL_ZNS0_40nearest_neighbor_bw_compute_source_indexEfiiEEEEvPKT_mmmmmmmmPS5_fff.num_vgpr, 26
	.set _ZN2at6native12_GLOBAL__N_137upsample_nearest3d_backward_out_frameIN3c104HalfEfXadL_ZNS0_40nearest_neighbor_bw_compute_source_indexEfiiEEEEvPKT_mmmmmmmmPS5_fff.num_agpr, 0
	.set _ZN2at6native12_GLOBAL__N_137upsample_nearest3d_backward_out_frameIN3c104HalfEfXadL_ZNS0_40nearest_neighbor_bw_compute_source_indexEfiiEEEEvPKT_mmmmmmmmPS5_fff.numbered_sgpr, 39
	.set _ZN2at6native12_GLOBAL__N_137upsample_nearest3d_backward_out_frameIN3c104HalfEfXadL_ZNS0_40nearest_neighbor_bw_compute_source_indexEfiiEEEEvPKT_mmmmmmmmPS5_fff.num_named_barrier, 0
	.set _ZN2at6native12_GLOBAL__N_137upsample_nearest3d_backward_out_frameIN3c104HalfEfXadL_ZNS0_40nearest_neighbor_bw_compute_source_indexEfiiEEEEvPKT_mmmmmmmmPS5_fff.private_seg_size, 0
	.set _ZN2at6native12_GLOBAL__N_137upsample_nearest3d_backward_out_frameIN3c104HalfEfXadL_ZNS0_40nearest_neighbor_bw_compute_source_indexEfiiEEEEvPKT_mmmmmmmmPS5_fff.uses_vcc, 1
	.set _ZN2at6native12_GLOBAL__N_137upsample_nearest3d_backward_out_frameIN3c104HalfEfXadL_ZNS0_40nearest_neighbor_bw_compute_source_indexEfiiEEEEvPKT_mmmmmmmmPS5_fff.uses_flat_scratch, 0
	.set _ZN2at6native12_GLOBAL__N_137upsample_nearest3d_backward_out_frameIN3c104HalfEfXadL_ZNS0_40nearest_neighbor_bw_compute_source_indexEfiiEEEEvPKT_mmmmmmmmPS5_fff.has_dyn_sized_stack, 0
	.set _ZN2at6native12_GLOBAL__N_137upsample_nearest3d_backward_out_frameIN3c104HalfEfXadL_ZNS0_40nearest_neighbor_bw_compute_source_indexEfiiEEEEvPKT_mmmmmmmmPS5_fff.has_recursion, 0
	.set _ZN2at6native12_GLOBAL__N_137upsample_nearest3d_backward_out_frameIN3c104HalfEfXadL_ZNS0_40nearest_neighbor_bw_compute_source_indexEfiiEEEEvPKT_mmmmmmmmPS5_fff.has_indirect_call, 0
	.section	.AMDGPU.csdata,"",@progbits
; Kernel info:
; codeLenInByte = 5696
; TotalNumSgprs: 41
; NumVgprs: 26
; ScratchSize: 0
; MemoryBound: 0
; FloatMode: 240
; IeeeMode: 1
; LDSByteSize: 0 bytes/workgroup (compile time only)
; SGPRBlocks: 0
; VGPRBlocks: 1
; NumSGPRsForWavesPerEU: 41
; NumVGPRsForWavesPerEU: 26
; NamedBarCnt: 0
; Occupancy: 16
; WaveLimiterHint : 0
; COMPUTE_PGM_RSRC2:SCRATCH_EN: 0
; COMPUTE_PGM_RSRC2:USER_SGPR: 2
; COMPUTE_PGM_RSRC2:TRAP_HANDLER: 0
; COMPUTE_PGM_RSRC2:TGID_X_EN: 1
; COMPUTE_PGM_RSRC2:TGID_Y_EN: 0
; COMPUTE_PGM_RSRC2:TGID_Z_EN: 0
; COMPUTE_PGM_RSRC2:TIDIG_COMP_CNT: 0
	.section	.text._ZN2at6native12_GLOBAL__N_137upsample_nearest3d_backward_out_frameIN3c108BFloat16EfXadL_ZNS0_40nearest_neighbor_bw_compute_source_indexEfiiEEEEvPKT_mmmmmmmmPS5_fff,"axG",@progbits,_ZN2at6native12_GLOBAL__N_137upsample_nearest3d_backward_out_frameIN3c108BFloat16EfXadL_ZNS0_40nearest_neighbor_bw_compute_source_indexEfiiEEEEvPKT_mmmmmmmmPS5_fff,comdat
	.globl	_ZN2at6native12_GLOBAL__N_137upsample_nearest3d_backward_out_frameIN3c108BFloat16EfXadL_ZNS0_40nearest_neighbor_bw_compute_source_indexEfiiEEEEvPKT_mmmmmmmmPS5_fff ; -- Begin function _ZN2at6native12_GLOBAL__N_137upsample_nearest3d_backward_out_frameIN3c108BFloat16EfXadL_ZNS0_40nearest_neighbor_bw_compute_source_indexEfiiEEEEvPKT_mmmmmmmmPS5_fff
	.p2align	8
	.type	_ZN2at6native12_GLOBAL__N_137upsample_nearest3d_backward_out_frameIN3c108BFloat16EfXadL_ZNS0_40nearest_neighbor_bw_compute_source_indexEfiiEEEEvPKT_mmmmmmmmPS5_fff,@function
_ZN2at6native12_GLOBAL__N_137upsample_nearest3d_backward_out_frameIN3c108BFloat16EfXadL_ZNS0_40nearest_neighbor_bw_compute_source_indexEfiiEEEEvPKT_mmmmmmmmPS5_fff: ; @_ZN2at6native12_GLOBAL__N_137upsample_nearest3d_backward_out_frameIN3c108BFloat16EfXadL_ZNS0_40nearest_neighbor_bw_compute_source_indexEfiiEEEEvPKT_mmmmmmmmPS5_fff
; %bb.0:
	s_clause 0x2
	s_load_b32 s2, s[0:1], 0x6c
	s_load_b512 s[4:19], s[0:1], 0x0
	s_load_b128 s[20:23], s[0:1], 0x40
	s_bfe_u32 s3, ttmp6, 0x4000c
	v_mov_b32_e32 v2, 0
	s_add_co_i32 s3, s3, 1
	s_and_b32 s24, ttmp6, 15
	s_mul_i32 s3, ttmp9, s3
	s_getreg_b32 s25, hwreg(HW_REG_IB_STS2, 6, 4)
	v_mov_b32_e32 v1, v2
	s_add_co_i32 s24, s24, s3
	s_wait_kmcnt 0x0
	s_and_b32 s2, s2, 0xffff
	s_cmp_eq_u32 s25, 0
	s_cselect_b32 s3, ttmp9, s24
	s_mul_u64 s[24:25], s[18:19], s[16:17]
	v_mad_nc_u64_u32 v[0:1], s2, s3, v[0:1]
	s_mul_u64 s[2:3], s[24:25], s[8:9]
	s_delay_alu instid0(SALU_CYCLE_1)
	s_mul_u64 s[2:3], s[2:3], s[20:21]
	s_delay_alu instid0(VALU_DEP_1) | instid1(SALU_CYCLE_1)
	v_cmp_gt_u64_e32 vcc_lo, s[2:3], v[0:1]
	s_and_saveexec_b32 s2, vcc_lo
	s_cbranch_execz .LBB13_44
; %bb.1:
	v_or_b32_e32 v3, s19, v1
	s_delay_alu instid0(VALU_DEP_1) | instskip(SKIP_1) | instid1(SALU_CYCLE_1)
	v_cmp_ne_u64_e32 vcc_lo, 0, v[2:3]
                                        ; implicit-def: $vgpr2_vgpr3
	s_and_saveexec_b32 s2, vcc_lo
	s_xor_b32 s3, exec_lo, s2
	s_cbranch_execz .LBB13_3
; %bb.2:
	s_cvt_f32_u32 s2, s18
	s_cvt_f32_u32 s26, s19
	s_sub_nc_u64 s[28:29], 0, s[18:19]
	s_mov_b32 s35, 0
	v_dual_mov_b32 v3, 0 :: v_dual_mov_b32 v2, v0
	s_fmamk_f32 s2, s26, 0x4f800000, s2
	s_delay_alu instid0(SALU_CYCLE_3) | instskip(NEXT) | instid1(TRANS32_DEP_1)
	v_s_rcp_f32 s2, s2
	s_mul_f32 s2, s2, 0x5f7ffffc
	s_delay_alu instid0(SALU_CYCLE_3) | instskip(NEXT) | instid1(SALU_CYCLE_3)
	s_mul_f32 s26, s2, 0x2f800000
	s_trunc_f32 s26, s26
	s_delay_alu instid0(SALU_CYCLE_3) | instskip(SKIP_1) | instid1(SALU_CYCLE_2)
	s_fmamk_f32 s2, s26, 0xcf800000, s2
	s_cvt_u32_f32 s27, s26
	s_cvt_u32_f32 s26, s2
	s_delay_alu instid0(SALU_CYCLE_3) | instskip(NEXT) | instid1(SALU_CYCLE_1)
	s_mul_u64 s[30:31], s[28:29], s[26:27]
	s_mul_hi_u32 s37, s26, s31
	s_mul_i32 s36, s26, s31
	s_mul_hi_u32 s34, s26, s30
	s_mul_i32 s33, s27, s30
	s_add_nc_u64 s[36:37], s[34:35], s[36:37]
	s_mul_hi_u32 s2, s27, s30
	s_mul_hi_u32 s38, s27, s31
	s_mul_i32 s30, s27, s31
	s_add_co_u32 s31, s36, s33
	s_add_co_ci_u32 s34, s37, s2
	s_add_co_ci_u32 s31, s38, 0
	s_delay_alu instid0(SALU_CYCLE_1) | instskip(NEXT) | instid1(SALU_CYCLE_1)
	s_add_nc_u64 s[30:31], s[34:35], s[30:31]
	s_add_co_u32 s26, s26, s30
	s_cselect_b32 s2, -1, 0
	s_delay_alu instid0(SALU_CYCLE_1) | instskip(SKIP_1) | instid1(SALU_CYCLE_1)
	s_cmp_lg_u32 s2, 0
	s_add_co_ci_u32 s27, s27, s31
	s_mul_u64 s[28:29], s[28:29], s[26:27]
	s_delay_alu instid0(SALU_CYCLE_1)
	s_mul_hi_u32 s31, s26, s29
	s_mul_i32 s30, s26, s29
	s_mul_hi_u32 s34, s26, s28
	s_mul_i32 s33, s27, s28
	s_add_nc_u64 s[30:31], s[34:35], s[30:31]
	s_mul_hi_u32 s2, s27, s28
	s_mul_hi_u32 s36, s27, s29
	s_mul_i32 s28, s27, s29
	s_add_co_u32 s29, s30, s33
	s_add_co_ci_u32 s34, s31, s2
	s_add_co_ci_u32 s29, s36, 0
	s_delay_alu instid0(SALU_CYCLE_1) | instskip(NEXT) | instid1(SALU_CYCLE_1)
	s_add_nc_u64 s[28:29], s[34:35], s[28:29]
	s_add_co_u32 s2, s26, s28
	s_cselect_b32 s26, -1, 0
	s_delay_alu instid0(SALU_CYCLE_1)
	s_cmp_lg_u32 s26, 0
	s_add_co_ci_u32 s34, s27, s29
	s_mov_b64 s[26:27], 0xffffffff
	v_mul_u64_e32 v[4:5], s[34:35], v[2:3]
	v_mul_hi_u32 v2, v0, s2
	s_and_b64 s[26:27], s[2:3], s[26:27]
	s_delay_alu instid0(VALU_DEP_1) | instskip(SKIP_1) | instid1(VALU_DEP_1)
	v_add_nc_u64_e32 v[4:5], v[2:3], v[4:5]
	v_mov_b32_e32 v2, v1
	v_mul_u64_e32 v[6:7], s[26:27], v[2:3]
	v_mul_u64_e32 v[8:9], s[34:35], v[2:3]
	s_delay_alu instid0(VALU_DEP_2) | instskip(NEXT) | instid1(VALU_DEP_3)
	v_add_co_u32 v2, vcc_lo, v4, v6
	v_add_co_ci_u32_e32 v2, vcc_lo, v5, v7, vcc_lo
	s_delay_alu instid0(VALU_DEP_3) | instskip(NEXT) | instid1(VALU_DEP_1)
	v_add_co_ci_u32_e32 v9, vcc_lo, 0, v9, vcc_lo
	v_add_nc_u64_e32 v[2:3], v[2:3], v[8:9]
	s_delay_alu instid0(VALU_DEP_1) | instskip(NEXT) | instid1(VALU_DEP_1)
	v_mul_u64_e32 v[4:5], s[18:19], v[2:3]
	v_sub_nc_u32_e32 v6, v1, v5
	s_delay_alu instid0(VALU_DEP_2) | instskip(NEXT) | instid1(VALU_DEP_1)
	v_sub_co_u32 v4, vcc_lo, v0, v4
	v_sub_co_ci_u32_e64 v11, null, v1, v5, vcc_lo
	s_delay_alu instid0(VALU_DEP_3) | instskip(NEXT) | instid1(VALU_DEP_3)
	v_subrev_co_ci_u32_e64 v6, null, s19, v6, vcc_lo
	v_sub_co_u32 v8, s2, v4, s18
	v_cmp_le_u32_e32 vcc_lo, s18, v4
	s_delay_alu instid0(VALU_DEP_3) | instskip(NEXT) | instid1(VALU_DEP_3)
	v_subrev_co_ci_u32_e64 v9, null, 0, v6, s2
	v_cmp_le_u32_e64 s2, s18, v8
	v_add_nc_u64_e32 v[6:7], 2, v[2:3]
	v_cndmask_b32_e64 v12, 0, -1, vcc_lo
	s_delay_alu instid0(VALU_DEP_4) | instskip(SKIP_3) | instid1(VALU_DEP_1)
	v_cmp_eq_u32_e32 vcc_lo, s19, v9
	v_add_nc_u64_e32 v[4:5], 1, v[2:3]
	v_cndmask_b32_e64 v8, 0, -1, s2
	v_cmp_le_u32_e64 s2, s19, v9
	v_cndmask_b32_e64 v10, 0, -1, s2
	v_cmp_eq_u32_e64 s2, s19, v11
	s_delay_alu instid0(VALU_DEP_2) | instskip(SKIP_2) | instid1(VALU_DEP_3)
	v_cndmask_b32_e32 v8, v10, v8, vcc_lo
	v_cmp_le_u32_e32 vcc_lo, s19, v11
	v_cndmask_b32_e64 v9, 0, -1, vcc_lo
	v_cmp_ne_u32_e32 vcc_lo, 0, v8
	s_delay_alu instid0(VALU_DEP_2) | instskip(SKIP_1) | instid1(VALU_DEP_2)
	v_dual_cndmask_b32 v8, v9, v12, s2 :: v_dual_cndmask_b32 v4, v4, v6, vcc_lo
	v_cndmask_b32_e32 v5, v5, v7, vcc_lo
	v_cmp_ne_u32_e32 vcc_lo, 0, v8
	s_delay_alu instid0(VALU_DEP_2)
	v_dual_cndmask_b32 v3, v3, v5 :: v_dual_cndmask_b32 v2, v2, v4
.LBB13_3:
	s_and_not1_saveexec_b32 s2, s3
	s_cbranch_execz .LBB13_5
; %bb.4:
	v_cvt_f32_u32_e32 v2, s18
	s_sub_co_i32 s3, 0, s18
	s_delay_alu instid0(VALU_DEP_1) | instskip(SKIP_1) | instid1(TRANS32_DEP_1)
	v_rcp_iflag_f32_e32 v2, v2
	v_nop
	v_mul_f32_e32 v2, 0x4f7ffffe, v2
	s_delay_alu instid0(VALU_DEP_1) | instskip(NEXT) | instid1(VALU_DEP_1)
	v_cvt_u32_f32_e32 v2, v2
	v_mul_lo_u32 v3, s3, v2
	s_delay_alu instid0(VALU_DEP_1) | instskip(NEXT) | instid1(VALU_DEP_1)
	v_mul_hi_u32 v3, v2, v3
	v_add_nc_u32_e32 v2, v2, v3
	s_delay_alu instid0(VALU_DEP_1) | instskip(NEXT) | instid1(VALU_DEP_1)
	v_mul_hi_u32 v2, v0, v2
	v_mul_lo_u32 v3, v2, s18
	s_delay_alu instid0(VALU_DEP_1) | instskip(NEXT) | instid1(VALU_DEP_1)
	v_dual_add_nc_u32 v4, 1, v2 :: v_dual_sub_nc_u32 v3, v0, v3
	v_subrev_nc_u32_e32 v5, s18, v3
	v_cmp_le_u32_e32 vcc_lo, s18, v3
	s_delay_alu instid0(VALU_DEP_2) | instskip(NEXT) | instid1(VALU_DEP_1)
	v_dual_cndmask_b32 v3, v3, v5 :: v_dual_cndmask_b32 v2, v2, v4
	v_cmp_le_u32_e32 vcc_lo, s18, v3
	s_delay_alu instid0(VALU_DEP_2) | instskip(NEXT) | instid1(VALU_DEP_1)
	v_dual_mov_b32 v3, 0 :: v_dual_add_nc_u32 v4, 1, v2
	v_cndmask_b32_e32 v2, v2, v4, vcc_lo
.LBB13_5:
	s_or_b32 exec_lo, exec_lo, s2
	s_delay_alu instid0(VALU_DEP_1) | instskip(SKIP_1) | instid1(VALU_DEP_1)
	v_dual_mov_b32 v6, 0 :: v_dual_bitop2_b32 v7, s21, v3 bitop3:0x54
                                        ; implicit-def: $vgpr4_vgpr5
	s_mov_b32 s2, exec_lo
	v_cmpx_ne_u64_e32 0, v[6:7]
	s_xor_b32 s3, exec_lo, s2
	s_cbranch_execz .LBB13_7
; %bb.6:
	s_cvt_f32_u32 s2, s20
	s_cvt_f32_u32 s26, s21
	s_sub_nc_u64 s[28:29], 0, s[20:21]
	s_mov_b32 s35, 0
	v_dual_mov_b32 v4, v2 :: v_dual_mov_b32 v5, v6
	s_fmamk_f32 s2, s26, 0x4f800000, s2
	v_dual_mov_b32 v8, v3 :: v_dual_mov_b32 v9, v6
	v_dual_mov_b32 v13, v6 :: v_dual_mov_b32 v7, v6
	s_delay_alu instid0(SALU_CYCLE_1) | instskip(NEXT) | instid1(TRANS32_DEP_1)
	v_s_rcp_f32 s2, s2
	s_mul_f32 s2, s2, 0x5f7ffffc
	s_delay_alu instid0(SALU_CYCLE_3) | instskip(NEXT) | instid1(SALU_CYCLE_3)
	s_mul_f32 s26, s2, 0x2f800000
	s_trunc_f32 s26, s26
	s_delay_alu instid0(SALU_CYCLE_3) | instskip(SKIP_1) | instid1(SALU_CYCLE_2)
	s_fmamk_f32 s2, s26, 0xcf800000, s2
	s_cvt_u32_f32 s27, s26
	s_cvt_u32_f32 s26, s2
	s_delay_alu instid0(SALU_CYCLE_3) | instskip(NEXT) | instid1(SALU_CYCLE_1)
	s_mul_u64 s[30:31], s[28:29], s[26:27]
	s_mul_hi_u32 s37, s26, s31
	s_mul_i32 s36, s26, s31
	s_mul_hi_u32 s34, s26, s30
	s_mul_i32 s33, s27, s30
	s_add_nc_u64 s[36:37], s[34:35], s[36:37]
	s_mul_hi_u32 s2, s27, s30
	s_mul_hi_u32 s38, s27, s31
	s_mul_i32 s30, s27, s31
	s_add_co_u32 s31, s36, s33
	s_add_co_ci_u32 s34, s37, s2
	s_add_co_ci_u32 s31, s38, 0
	s_delay_alu instid0(SALU_CYCLE_1) | instskip(NEXT) | instid1(SALU_CYCLE_1)
	s_add_nc_u64 s[30:31], s[34:35], s[30:31]
	s_add_co_u32 s26, s26, s30
	s_cselect_b32 s2, -1, 0
	s_delay_alu instid0(SALU_CYCLE_1) | instskip(SKIP_1) | instid1(SALU_CYCLE_1)
	s_cmp_lg_u32 s2, 0
	s_add_co_ci_u32 s27, s27, s31
	s_mul_u64 s[28:29], s[28:29], s[26:27]
	s_delay_alu instid0(SALU_CYCLE_1)
	s_mul_hi_u32 s31, s26, s29
	s_mul_i32 s30, s26, s29
	s_mul_hi_u32 s34, s26, s28
	s_mul_i32 s33, s27, s28
	s_add_nc_u64 s[30:31], s[34:35], s[30:31]
	s_mul_hi_u32 s2, s27, s28
	s_mul_hi_u32 s36, s27, s29
	s_mul_i32 s28, s27, s29
	s_add_co_u32 s29, s30, s33
	s_add_co_ci_u32 s34, s31, s2
	s_add_co_ci_u32 s29, s36, 0
	s_delay_alu instid0(SALU_CYCLE_1) | instskip(NEXT) | instid1(SALU_CYCLE_1)
	s_add_nc_u64 s[28:29], s[34:35], s[28:29]
	s_add_co_u32 s2, s26, s28
	s_cselect_b32 s26, -1, 0
	v_nop
	v_mul_hi_u32 v12, v2, s2
	s_cmp_lg_u32 s26, 0
	s_add_co_ci_u32 s34, s27, s29
	s_mov_b64 s[26:27], 0xffffffff
	v_mul_u64_e32 v[4:5], s[34:35], v[4:5]
	s_and_b64 s[26:27], s[2:3], s[26:27]
	s_delay_alu instid0(SALU_CYCLE_1) | instskip(SKIP_1) | instid1(VALU_DEP_3)
	v_mul_u64_e32 v[10:11], s[26:27], v[8:9]
	v_mul_u64_e32 v[8:9], s[34:35], v[8:9]
	v_add_nc_u64_e32 v[4:5], v[12:13], v[4:5]
	s_delay_alu instid0(VALU_DEP_1) | instskip(NEXT) | instid1(VALU_DEP_2)
	v_add_co_u32 v4, vcc_lo, v4, v10
	v_add_co_ci_u32_e32 v6, vcc_lo, v5, v11, vcc_lo
	s_delay_alu instid0(VALU_DEP_4) | instskip(NEXT) | instid1(VALU_DEP_1)
	v_add_co_ci_u32_e32 v9, vcc_lo, 0, v9, vcc_lo
	v_add_nc_u64_e32 v[4:5], v[6:7], v[8:9]
	s_delay_alu instid0(VALU_DEP_1) | instskip(NEXT) | instid1(VALU_DEP_1)
	v_mul_u64_e32 v[6:7], s[20:21], v[4:5]
	v_sub_nc_u32_e32 v8, v3, v7
	s_delay_alu instid0(VALU_DEP_2) | instskip(NEXT) | instid1(VALU_DEP_1)
	v_sub_co_u32 v2, vcc_lo, v2, v6
	v_sub_co_ci_u32_e64 v7, null, v3, v7, vcc_lo
	s_delay_alu instid0(VALU_DEP_3) | instskip(NEXT) | instid1(VALU_DEP_3)
	v_subrev_co_ci_u32_e64 v6, null, s21, v8, vcc_lo
	v_sub_co_u32 v10, s2, v2, s20
	v_cmp_le_u32_e32 vcc_lo, s20, v2
	s_delay_alu instid0(VALU_DEP_3) | instskip(NEXT) | instid1(VALU_DEP_3)
	v_subrev_co_ci_u32_e64 v6, null, 0, v6, s2
	v_cmp_le_u32_e64 s2, s20, v10
	v_add_nc_u64_e32 v[8:9], 2, v[4:5]
	v_cndmask_b32_e64 v12, 0, -1, vcc_lo
	s_delay_alu instid0(VALU_DEP_4) | instskip(SKIP_3) | instid1(VALU_DEP_1)
	v_cmp_eq_u32_e32 vcc_lo, s21, v6
	v_add_nc_u64_e32 v[2:3], 1, v[4:5]
	v_cndmask_b32_e64 v10, 0, -1, s2
	v_cmp_le_u32_e64 s2, s21, v6
	v_cndmask_b32_e64 v11, 0, -1, s2
	v_cmp_eq_u32_e64 s2, s21, v7
	s_delay_alu instid0(VALU_DEP_2) | instskip(SKIP_2) | instid1(VALU_DEP_3)
	v_cndmask_b32_e32 v6, v11, v10, vcc_lo
	v_cmp_le_u32_e32 vcc_lo, s21, v7
	v_cndmask_b32_e64 v10, 0, -1, vcc_lo
	v_cmp_ne_u32_e32 vcc_lo, 0, v6
	s_delay_alu instid0(VALU_DEP_2) | instskip(SKIP_1) | instid1(VALU_DEP_2)
	v_cndmask_b32_e64 v6, v10, v12, s2
	v_dual_cndmask_b32 v2, v2, v8 :: v_dual_cndmask_b32 v3, v3, v9
	v_cmp_ne_u32_e32 vcc_lo, 0, v6
	s_delay_alu instid0(VALU_DEP_2)
	v_dual_cndmask_b32 v4, v4, v2 :: v_dual_cndmask_b32 v5, v5, v3
                                        ; implicit-def: $vgpr2_vgpr3
.LBB13_7:
	s_and_not1_saveexec_b32 s2, s3
	s_cbranch_execz .LBB13_9
; %bb.8:
	v_cvt_f32_u32_e32 v3, s20
	s_sub_co_i32 s3, 0, s20
	s_delay_alu instid0(VALU_DEP_1) | instskip(SKIP_1) | instid1(TRANS32_DEP_1)
	v_rcp_iflag_f32_e32 v3, v3
	v_nop
	v_mul_f32_e32 v3, 0x4f7ffffe, v3
	s_delay_alu instid0(VALU_DEP_1) | instskip(NEXT) | instid1(VALU_DEP_1)
	v_cvt_u32_f32_e32 v3, v3
	v_mul_lo_u32 v4, s3, v3
	s_delay_alu instid0(VALU_DEP_1) | instskip(NEXT) | instid1(VALU_DEP_1)
	v_mul_hi_u32 v4, v3, v4
	v_add_nc_u32_e32 v3, v3, v4
	s_delay_alu instid0(VALU_DEP_1) | instskip(NEXT) | instid1(VALU_DEP_1)
	v_mul_hi_u32 v3, v2, v3
	v_mul_lo_u32 v4, v3, s20
	s_delay_alu instid0(VALU_DEP_1) | instskip(NEXT) | instid1(VALU_DEP_1)
	v_dual_sub_nc_u32 v2, v2, v4 :: v_dual_add_nc_u32 v4, 1, v3
	v_subrev_nc_u32_e32 v5, s20, v2
	v_cmp_le_u32_e32 vcc_lo, s20, v2
	s_delay_alu instid0(VALU_DEP_2) | instskip(NEXT) | instid1(VALU_DEP_4)
	v_dual_cndmask_b32 v2, v2, v5 :: v_dual_mov_b32 v5, 0
	v_cndmask_b32_e32 v3, v3, v4, vcc_lo
	s_delay_alu instid0(VALU_DEP_2) | instskip(NEXT) | instid1(VALU_DEP_2)
	v_cmp_le_u32_e32 vcc_lo, s20, v2
	v_add_nc_u32_e32 v4, 1, v3
	s_delay_alu instid0(VALU_DEP_1)
	v_cndmask_b32_e32 v4, v3, v4, vcc_lo
.LBB13_9:
	s_or_b32 exec_lo, exec_lo, s2
	s_delay_alu instid0(VALU_DEP_1) | instskip(SKIP_1) | instid1(VALU_DEP_1)
	v_dual_mov_b32 v6, 0 :: v_dual_bitop2_b32 v7, s17, v5 bitop3:0x54
                                        ; implicit-def: $vgpr2_vgpr3
	s_mov_b32 s2, exec_lo
	v_cmpx_ne_u64_e32 0, v[6:7]
	s_xor_b32 s3, exec_lo, s2
	s_cbranch_execz .LBB13_11
; %bb.10:
	s_cvt_f32_u32 s2, s16
	s_cvt_f32_u32 s26, s17
	s_sub_nc_u64 s[28:29], 0, s[16:17]
	s_mov_b32 s35, 0
	v_dual_mov_b32 v2, v4 :: v_dual_mov_b32 v3, v6
	s_fmamk_f32 s2, s26, 0x4f800000, s2
	v_dual_mov_b32 v8, v5 :: v_dual_mov_b32 v9, v6
	v_dual_mov_b32 v13, v6 :: v_dual_mov_b32 v7, v6
	s_delay_alu instid0(SALU_CYCLE_1) | instskip(NEXT) | instid1(TRANS32_DEP_1)
	v_s_rcp_f32 s2, s2
	s_mul_f32 s2, s2, 0x5f7ffffc
	s_delay_alu instid0(SALU_CYCLE_3) | instskip(NEXT) | instid1(SALU_CYCLE_3)
	s_mul_f32 s26, s2, 0x2f800000
	s_trunc_f32 s26, s26
	s_delay_alu instid0(SALU_CYCLE_3) | instskip(SKIP_1) | instid1(SALU_CYCLE_2)
	s_fmamk_f32 s2, s26, 0xcf800000, s2
	s_cvt_u32_f32 s27, s26
	s_cvt_u32_f32 s26, s2
	s_delay_alu instid0(SALU_CYCLE_3) | instskip(NEXT) | instid1(SALU_CYCLE_1)
	s_mul_u64 s[30:31], s[28:29], s[26:27]
	s_mul_hi_u32 s37, s26, s31
	s_mul_i32 s36, s26, s31
	s_mul_hi_u32 s34, s26, s30
	s_mul_i32 s33, s27, s30
	s_add_nc_u64 s[36:37], s[34:35], s[36:37]
	s_mul_hi_u32 s2, s27, s30
	s_mul_hi_u32 s38, s27, s31
	s_mul_i32 s30, s27, s31
	s_add_co_u32 s31, s36, s33
	s_add_co_ci_u32 s34, s37, s2
	s_add_co_ci_u32 s31, s38, 0
	s_delay_alu instid0(SALU_CYCLE_1) | instskip(NEXT) | instid1(SALU_CYCLE_1)
	s_add_nc_u64 s[30:31], s[34:35], s[30:31]
	s_add_co_u32 s26, s26, s30
	s_cselect_b32 s2, -1, 0
	s_delay_alu instid0(SALU_CYCLE_1) | instskip(SKIP_1) | instid1(SALU_CYCLE_1)
	s_cmp_lg_u32 s2, 0
	s_add_co_ci_u32 s27, s27, s31
	s_mul_u64 s[28:29], s[28:29], s[26:27]
	s_delay_alu instid0(SALU_CYCLE_1)
	s_mul_hi_u32 s31, s26, s29
	s_mul_i32 s30, s26, s29
	s_mul_hi_u32 s34, s26, s28
	s_mul_i32 s33, s27, s28
	s_add_nc_u64 s[30:31], s[34:35], s[30:31]
	s_mul_hi_u32 s2, s27, s28
	s_mul_hi_u32 s36, s27, s29
	s_mul_i32 s28, s27, s29
	s_add_co_u32 s29, s30, s33
	s_add_co_ci_u32 s34, s31, s2
	s_add_co_ci_u32 s29, s36, 0
	s_delay_alu instid0(SALU_CYCLE_1) | instskip(NEXT) | instid1(SALU_CYCLE_1)
	s_add_nc_u64 s[28:29], s[34:35], s[28:29]
	s_add_co_u32 s2, s26, s28
	s_cselect_b32 s26, -1, 0
	v_nop
	v_mul_hi_u32 v12, v4, s2
	s_cmp_lg_u32 s26, 0
	s_add_co_ci_u32 s34, s27, s29
	s_mov_b64 s[26:27], 0xffffffff
	v_mul_u64_e32 v[2:3], s[34:35], v[2:3]
	s_and_b64 s[26:27], s[2:3], s[26:27]
	s_delay_alu instid0(SALU_CYCLE_1) | instskip(SKIP_1) | instid1(VALU_DEP_3)
	v_mul_u64_e32 v[10:11], s[26:27], v[8:9]
	v_mul_u64_e32 v[8:9], s[34:35], v[8:9]
	v_add_nc_u64_e32 v[2:3], v[12:13], v[2:3]
	s_delay_alu instid0(VALU_DEP_1) | instskip(NEXT) | instid1(VALU_DEP_2)
	v_add_co_u32 v2, vcc_lo, v2, v10
	v_add_co_ci_u32_e32 v6, vcc_lo, v3, v11, vcc_lo
	s_delay_alu instid0(VALU_DEP_4) | instskip(NEXT) | instid1(VALU_DEP_1)
	v_add_co_ci_u32_e32 v9, vcc_lo, 0, v9, vcc_lo
	v_add_nc_u64_e32 v[2:3], v[6:7], v[8:9]
	s_delay_alu instid0(VALU_DEP_1) | instskip(NEXT) | instid1(VALU_DEP_1)
	v_mul_u64_e32 v[2:3], s[16:17], v[2:3]
	v_sub_nc_u32_e32 v6, v5, v3
	s_delay_alu instid0(VALU_DEP_2) | instskip(NEXT) | instid1(VALU_DEP_1)
	v_sub_co_u32 v2, vcc_lo, v4, v2
	v_sub_co_ci_u32_e64 v3, null, v5, v3, vcc_lo
	s_delay_alu instid0(VALU_DEP_3) | instskip(NEXT) | instid1(VALU_DEP_3)
	v_subrev_co_ci_u32_e64 v4, null, s17, v6, vcc_lo
	v_sub_co_u32 v5, vcc_lo, v2, s16
	v_cmp_le_u32_e64 s2, s16, v2
	s_delay_alu instid0(VALU_DEP_3) | instskip(SKIP_1) | instid1(VALU_DEP_3)
	v_subrev_co_ci_u32_e64 v6, null, 0, v4, vcc_lo
	v_subrev_co_ci_u32_e64 v4, null, s17, v4, vcc_lo
	v_cndmask_b32_e64 v7, 0, -1, s2
	v_cmp_le_u32_e64 s2, s16, v5
	v_cmp_le_u32_e32 vcc_lo, s17, v3
	s_delay_alu instid0(VALU_DEP_2) | instskip(SKIP_3) | instid1(VALU_DEP_3)
	v_cndmask_b32_e64 v8, 0, -1, s2
	v_cmp_le_u32_e64 s2, s17, v6
	v_cndmask_b32_e64 v10, 0, -1, vcc_lo
	v_cmp_eq_u32_e32 vcc_lo, s17, v6
	v_cndmask_b32_e64 v9, 0, -1, s2
	s_delay_alu instid0(VALU_DEP_1) | instskip(SKIP_1) | instid1(VALU_DEP_1)
	v_cndmask_b32_e32 v6, v9, v8, vcc_lo
	v_sub_co_u32 v8, vcc_lo, v5, s16
	v_subrev_co_ci_u32_e64 v4, null, 0, v4, vcc_lo
	v_cmp_eq_u32_e32 vcc_lo, s17, v3
	v_cndmask_b32_e32 v3, v10, v7, vcc_lo
	v_cmp_ne_u32_e32 vcc_lo, 0, v6
	v_cndmask_b32_e32 v4, v5, v8, vcc_lo
	s_delay_alu instid0(VALU_DEP_3) | instskip(NEXT) | instid1(VALU_DEP_2)
	v_cmp_ne_u32_e32 vcc_lo, 0, v3
	v_cndmask_b32_e32 v2, v2, v4, vcc_lo
                                        ; implicit-def: $vgpr4_vgpr5
.LBB13_11:
	s_and_not1_saveexec_b32 s2, s3
	s_cbranch_execz .LBB13_13
; %bb.12:
	v_cvt_f32_u32_e32 v2, s16
	s_sub_co_i32 s3, 0, s16
	s_delay_alu instid0(VALU_DEP_1) | instskip(SKIP_1) | instid1(TRANS32_DEP_1)
	v_rcp_iflag_f32_e32 v2, v2
	v_nop
	v_mul_f32_e32 v2, 0x4f7ffffe, v2
	s_delay_alu instid0(VALU_DEP_1) | instskip(NEXT) | instid1(VALU_DEP_1)
	v_cvt_u32_f32_e32 v2, v2
	v_mul_lo_u32 v3, s3, v2
	s_delay_alu instid0(VALU_DEP_1) | instskip(NEXT) | instid1(VALU_DEP_1)
	v_mul_hi_u32 v3, v2, v3
	v_add_nc_u32_e32 v2, v2, v3
	s_delay_alu instid0(VALU_DEP_1) | instskip(NEXT) | instid1(VALU_DEP_1)
	v_mul_hi_u32 v2, v4, v2
	v_mul_lo_u32 v2, v2, s16
	s_delay_alu instid0(VALU_DEP_1) | instskip(NEXT) | instid1(VALU_DEP_1)
	v_sub_nc_u32_e32 v2, v4, v2
	v_subrev_nc_u32_e32 v3, s16, v2
	v_cmp_le_u32_e32 vcc_lo, s16, v2
	s_delay_alu instid0(VALU_DEP_2) | instskip(NEXT) | instid1(VALU_DEP_1)
	v_cndmask_b32_e32 v2, v2, v3, vcc_lo
	v_subrev_nc_u32_e32 v3, s16, v2
	v_cmp_le_u32_e32 vcc_lo, s16, v2
	s_delay_alu instid0(VALU_DEP_2)
	v_cndmask_b32_e32 v2, v2, v3, vcc_lo
.LBB13_13:
	s_or_b32 exec_lo, exec_lo, s2
	v_dual_mov_b32 v6, 0 :: v_dual_bitop2_b32 v7, s21, v1 bitop3:0x54
                                        ; implicit-def: $vgpr4_vgpr5
	s_mov_b32 s2, exec_lo
	s_delay_alu instid0(VALU_DEP_1)
	v_cmpx_ne_u64_e32 0, v[6:7]
	s_xor_b32 s3, exec_lo, s2
	s_cbranch_execz .LBB13_15
; %bb.14:
	s_cvt_f32_u32 s2, s20
	s_cvt_f32_u32 s16, s21
	s_sub_nc_u64 s[26:27], 0, s[20:21]
	s_mov_b32 s31, 0
	v_dual_mov_b32 v4, v0 :: v_dual_mov_b32 v5, v6
	s_fmamk_f32 s2, s16, 0x4f800000, s2
	v_dual_mov_b32 v8, v1 :: v_dual_mov_b32 v9, v6
	v_dual_mov_b32 v13, v6 :: v_dual_mov_b32 v7, v6
	s_delay_alu instid0(SALU_CYCLE_1) | instskip(NEXT) | instid1(TRANS32_DEP_1)
	v_s_rcp_f32 s2, s2
	s_mul_f32 s2, s2, 0x5f7ffffc
	s_delay_alu instid0(SALU_CYCLE_3) | instskip(NEXT) | instid1(SALU_CYCLE_3)
	s_mul_f32 s16, s2, 0x2f800000
	s_trunc_f32 s16, s16
	s_delay_alu instid0(SALU_CYCLE_3) | instskip(SKIP_1) | instid1(SALU_CYCLE_2)
	s_fmamk_f32 s2, s16, 0xcf800000, s2
	s_cvt_u32_f32 s17, s16
	s_cvt_u32_f32 s16, s2
	s_delay_alu instid0(SALU_CYCLE_3) | instskip(NEXT) | instid1(SALU_CYCLE_1)
	s_mul_u64 s[28:29], s[26:27], s[16:17]
	s_mul_hi_u32 s35, s16, s29
	s_mul_i32 s34, s16, s29
	s_mul_hi_u32 s30, s16, s28
	s_mul_i32 s33, s17, s28
	s_add_nc_u64 s[34:35], s[30:31], s[34:35]
	s_mul_hi_u32 s2, s17, s28
	s_mul_hi_u32 s36, s17, s29
	s_mul_i32 s28, s17, s29
	s_add_co_u32 s29, s34, s33
	s_add_co_ci_u32 s30, s35, s2
	s_add_co_ci_u32 s29, s36, 0
	s_delay_alu instid0(SALU_CYCLE_1) | instskip(NEXT) | instid1(SALU_CYCLE_1)
	s_add_nc_u64 s[28:29], s[30:31], s[28:29]
	s_add_co_u32 s16, s16, s28
	s_cselect_b32 s2, -1, 0
	s_delay_alu instid0(SALU_CYCLE_1) | instskip(SKIP_1) | instid1(SALU_CYCLE_1)
	s_cmp_lg_u32 s2, 0
	s_add_co_ci_u32 s17, s17, s29
	s_mul_u64 s[26:27], s[26:27], s[16:17]
	s_delay_alu instid0(SALU_CYCLE_1)
	s_mul_hi_u32 s29, s16, s27
	s_mul_i32 s28, s16, s27
	s_mul_hi_u32 s30, s16, s26
	s_mul_i32 s33, s17, s26
	s_add_nc_u64 s[28:29], s[30:31], s[28:29]
	s_mul_hi_u32 s2, s17, s26
	s_mul_hi_u32 s34, s17, s27
	s_mul_i32 s26, s17, s27
	s_add_co_u32 s27, s28, s33
	s_add_co_ci_u32 s30, s29, s2
	s_add_co_ci_u32 s27, s34, 0
	s_delay_alu instid0(SALU_CYCLE_1) | instskip(NEXT) | instid1(SALU_CYCLE_1)
	s_add_nc_u64 s[26:27], s[30:31], s[26:27]
	s_add_co_u32 s2, s16, s26
	s_cselect_b32 s16, -1, 0
	v_nop
	v_mul_hi_u32 v12, v0, s2
	s_cmp_lg_u32 s16, 0
	s_add_co_ci_u32 s30, s17, s27
	s_mov_b64 s[16:17], 0xffffffff
	v_mul_u64_e32 v[4:5], s[30:31], v[4:5]
	s_and_b64 s[16:17], s[2:3], s[16:17]
	s_delay_alu instid0(SALU_CYCLE_1) | instskip(SKIP_1) | instid1(VALU_DEP_3)
	v_mul_u64_e32 v[10:11], s[16:17], v[8:9]
	v_mul_u64_e32 v[8:9], s[30:31], v[8:9]
	v_add_nc_u64_e32 v[4:5], v[12:13], v[4:5]
	s_delay_alu instid0(VALU_DEP_1) | instskip(NEXT) | instid1(VALU_DEP_2)
	v_add_co_u32 v3, vcc_lo, v4, v10
	v_add_co_ci_u32_e32 v6, vcc_lo, v5, v11, vcc_lo
	s_delay_alu instid0(VALU_DEP_4) | instskip(NEXT) | instid1(VALU_DEP_1)
	v_add_co_ci_u32_e32 v9, vcc_lo, 0, v9, vcc_lo
	v_add_nc_u64_e32 v[4:5], v[6:7], v[8:9]
	s_delay_alu instid0(VALU_DEP_1) | instskip(SKIP_1) | instid1(VALU_DEP_2)
	v_mul_u64_e32 v[6:7], s[20:21], v[4:5]
	v_add_nc_u64_e32 v[8:9], 2, v[4:5]
	v_sub_nc_u32_e32 v3, v1, v7
	s_delay_alu instid0(VALU_DEP_3) | instskip(NEXT) | instid1(VALU_DEP_1)
	v_sub_co_u32 v6, vcc_lo, v0, v6
	v_sub_co_ci_u32_e64 v12, null, v1, v7, vcc_lo
	s_delay_alu instid0(VALU_DEP_3) | instskip(NEXT) | instid1(VALU_DEP_3)
	v_subrev_co_ci_u32_e64 v3, null, s21, v3, vcc_lo
	v_sub_co_u32 v10, s2, v6, s20
	v_cmp_le_u32_e32 vcc_lo, s20, v6
	s_delay_alu instid0(VALU_DEP_3) | instskip(NEXT) | instid1(VALU_DEP_3)
	v_subrev_co_ci_u32_e64 v3, null, 0, v3, s2
	v_cmp_le_u32_e64 s2, s20, v10
	v_add_nc_u64_e32 v[6:7], 1, v[4:5]
	v_cndmask_b32_e64 v13, 0, -1, vcc_lo
	s_delay_alu instid0(VALU_DEP_4) | instskip(NEXT) | instid1(VALU_DEP_4)
	v_cmp_eq_u32_e32 vcc_lo, s21, v3
	v_cndmask_b32_e64 v10, 0, -1, s2
	v_cmp_le_u32_e64 s2, s21, v3
	s_delay_alu instid0(VALU_DEP_1) | instskip(SKIP_1) | instid1(VALU_DEP_2)
	v_cndmask_b32_e64 v11, 0, -1, s2
	v_cmp_eq_u32_e64 s2, s21, v12
	v_cndmask_b32_e32 v3, v11, v10, vcc_lo
	v_cmp_le_u32_e32 vcc_lo, s21, v12
	v_cndmask_b32_e64 v10, 0, -1, vcc_lo
	s_delay_alu instid0(VALU_DEP_3) | instskip(SKIP_1) | instid1(VALU_DEP_3)
	v_cmp_ne_u32_e32 vcc_lo, 0, v3
	v_cndmask_b32_e32 v7, v7, v9, vcc_lo
	v_cndmask_b32_e64 v3, v10, v13, s2
	v_cndmask_b32_e32 v6, v6, v8, vcc_lo
	s_delay_alu instid0(VALU_DEP_2) | instskip(NEXT) | instid1(VALU_DEP_2)
	v_cmp_ne_u32_e32 vcc_lo, 0, v3
	v_dual_cndmask_b32 v5, v5, v7 :: v_dual_cndmask_b32 v4, v4, v6
.LBB13_15:
	s_and_not1_saveexec_b32 s2, s3
	s_cbranch_execz .LBB13_17
; %bb.16:
	v_cvt_f32_u32_e32 v3, s20
	s_sub_co_i32 s3, 0, s20
	s_delay_alu instid0(VALU_DEP_1) | instskip(SKIP_1) | instid1(TRANS32_DEP_1)
	v_rcp_iflag_f32_e32 v3, v3
	v_nop
	v_mul_f32_e32 v3, 0x4f7ffffe, v3
	s_delay_alu instid0(VALU_DEP_1) | instskip(NEXT) | instid1(VALU_DEP_1)
	v_cvt_u32_f32_e32 v3, v3
	v_mul_lo_u32 v4, s3, v3
	s_delay_alu instid0(VALU_DEP_1) | instskip(NEXT) | instid1(VALU_DEP_1)
	v_mul_hi_u32 v4, v3, v4
	v_add_nc_u32_e32 v3, v3, v4
	s_delay_alu instid0(VALU_DEP_1) | instskip(NEXT) | instid1(VALU_DEP_1)
	v_mul_hi_u32 v3, v0, v3
	v_mul_lo_u32 v4, v3, s20
	s_delay_alu instid0(VALU_DEP_1) | instskip(NEXT) | instid1(VALU_DEP_1)
	v_dual_add_nc_u32 v5, 1, v3 :: v_dual_sub_nc_u32 v4, v0, v4
	v_subrev_nc_u32_e32 v6, s20, v4
	v_cmp_le_u32_e32 vcc_lo, s20, v4
	s_delay_alu instid0(VALU_DEP_2) | instskip(NEXT) | instid1(VALU_DEP_1)
	v_dual_cndmask_b32 v4, v4, v6 :: v_dual_cndmask_b32 v3, v3, v5
	v_cmp_le_u32_e32 vcc_lo, s20, v4
	s_delay_alu instid0(VALU_DEP_2) | instskip(NEXT) | instid1(VALU_DEP_1)
	v_add_nc_u32_e32 v5, 1, v3
	v_dual_cndmask_b32 v4, v3, v5 :: v_dual_mov_b32 v5, 0
.LBB13_17:
	s_or_b32 exec_lo, exec_lo, s2
	s_delay_alu instid0(VALU_DEP_1) | instskip(SKIP_1) | instid1(VALU_DEP_1)
	v_dual_mov_b32 v8, 0 :: v_dual_bitop2_b32 v9, s19, v5 bitop3:0x54
                                        ; implicit-def: $vgpr6_vgpr7
	s_mov_b32 s2, exec_lo
	v_cmpx_ne_u64_e32 0, v[8:9]
	s_xor_b32 s3, exec_lo, s2
	s_cbranch_execnz .LBB13_20
; %bb.18:
	s_and_not1_saveexec_b32 s2, s3
	s_cbranch_execnz .LBB13_21
.LBB13_19:
	s_or_b32 exec_lo, exec_lo, s2
	s_cmp_eq_u64 s[6:7], 0
	s_cbranch_scc0 .LBB13_22
	s_branch .LBB13_44
.LBB13_20:
	s_cvt_f32_u32 s2, s18
	s_cvt_f32_u32 s16, s19
	s_sub_nc_u64 s[26:27], 0, s[18:19]
	s_mov_b32 s31, 0
	v_dual_mov_b32 v6, v4 :: v_dual_mov_b32 v7, v8
	s_fmamk_f32 s2, s16, 0x4f800000, s2
	v_dual_mov_b32 v10, v5 :: v_dual_mov_b32 v11, v8
	v_dual_mov_b32 v15, v8 :: v_dual_mov_b32 v9, v8
	s_delay_alu instid0(SALU_CYCLE_1) | instskip(NEXT) | instid1(TRANS32_DEP_1)
	v_s_rcp_f32 s2, s2
	s_mul_f32 s2, s2, 0x5f7ffffc
	s_delay_alu instid0(SALU_CYCLE_3) | instskip(NEXT) | instid1(SALU_CYCLE_3)
	s_mul_f32 s16, s2, 0x2f800000
	s_trunc_f32 s16, s16
	s_delay_alu instid0(SALU_CYCLE_3) | instskip(SKIP_1) | instid1(SALU_CYCLE_2)
	s_fmamk_f32 s2, s16, 0xcf800000, s2
	s_cvt_u32_f32 s17, s16
	s_cvt_u32_f32 s16, s2
	s_delay_alu instid0(SALU_CYCLE_3) | instskip(NEXT) | instid1(SALU_CYCLE_1)
	s_mul_u64 s[28:29], s[26:27], s[16:17]
	s_mul_hi_u32 s35, s16, s29
	s_mul_i32 s34, s16, s29
	s_mul_hi_u32 s30, s16, s28
	s_mul_i32 s33, s17, s28
	s_add_nc_u64 s[34:35], s[30:31], s[34:35]
	s_mul_hi_u32 s2, s17, s28
	s_mul_hi_u32 s36, s17, s29
	s_mul_i32 s28, s17, s29
	s_add_co_u32 s29, s34, s33
	s_add_co_ci_u32 s30, s35, s2
	s_add_co_ci_u32 s29, s36, 0
	s_delay_alu instid0(SALU_CYCLE_1) | instskip(NEXT) | instid1(SALU_CYCLE_1)
	s_add_nc_u64 s[28:29], s[30:31], s[28:29]
	s_add_co_u32 s16, s16, s28
	s_cselect_b32 s2, -1, 0
	s_delay_alu instid0(SALU_CYCLE_1) | instskip(SKIP_1) | instid1(SALU_CYCLE_1)
	s_cmp_lg_u32 s2, 0
	s_add_co_ci_u32 s17, s17, s29
	s_mul_u64 s[26:27], s[26:27], s[16:17]
	s_delay_alu instid0(SALU_CYCLE_1)
	s_mul_hi_u32 s29, s16, s27
	s_mul_i32 s28, s16, s27
	s_mul_hi_u32 s30, s16, s26
	s_mul_i32 s33, s17, s26
	s_add_nc_u64 s[28:29], s[30:31], s[28:29]
	s_mul_hi_u32 s2, s17, s26
	s_mul_hi_u32 s34, s17, s27
	s_mul_i32 s26, s17, s27
	s_add_co_u32 s27, s28, s33
	s_add_co_ci_u32 s30, s29, s2
	s_add_co_ci_u32 s27, s34, 0
	s_delay_alu instid0(SALU_CYCLE_1) | instskip(NEXT) | instid1(SALU_CYCLE_1)
	s_add_nc_u64 s[26:27], s[30:31], s[26:27]
	s_add_co_u32 s2, s16, s26
	s_cselect_b32 s16, -1, 0
	v_nop
	v_mul_hi_u32 v14, v4, s2
	s_cmp_lg_u32 s16, 0
	s_add_co_ci_u32 s30, s17, s27
	s_mov_b64 s[16:17], 0xffffffff
	v_mul_u64_e32 v[6:7], s[30:31], v[6:7]
	s_and_b64 s[16:17], s[2:3], s[16:17]
	s_delay_alu instid0(SALU_CYCLE_1) | instskip(SKIP_1) | instid1(VALU_DEP_3)
	v_mul_u64_e32 v[12:13], s[16:17], v[10:11]
	v_mul_u64_e32 v[10:11], s[30:31], v[10:11]
	v_add_nc_u64_e32 v[6:7], v[14:15], v[6:7]
	s_delay_alu instid0(VALU_DEP_1) | instskip(NEXT) | instid1(VALU_DEP_2)
	v_add_co_u32 v3, vcc_lo, v6, v12
	v_add_co_ci_u32_e32 v8, vcc_lo, v7, v13, vcc_lo
	s_delay_alu instid0(VALU_DEP_4) | instskip(NEXT) | instid1(VALU_DEP_1)
	v_add_co_ci_u32_e32 v11, vcc_lo, 0, v11, vcc_lo
	v_add_nc_u64_e32 v[6:7], v[8:9], v[10:11]
	s_delay_alu instid0(VALU_DEP_1) | instskip(NEXT) | instid1(VALU_DEP_1)
	v_mul_u64_e32 v[6:7], s[18:19], v[6:7]
	v_sub_nc_u32_e32 v3, v5, v7
	s_delay_alu instid0(VALU_DEP_2) | instskip(NEXT) | instid1(VALU_DEP_1)
	v_sub_co_u32 v6, vcc_lo, v4, v6
	v_sub_co_ci_u32_e64 v5, null, v5, v7, vcc_lo
	s_delay_alu instid0(VALU_DEP_3) | instskip(NEXT) | instid1(VALU_DEP_3)
	v_subrev_co_ci_u32_e64 v3, null, s19, v3, vcc_lo
	v_sub_co_u32 v7, vcc_lo, v6, s18
	v_cmp_le_u32_e64 s2, s18, v6
	s_delay_alu instid0(VALU_DEP_3) | instskip(SKIP_1) | instid1(VALU_DEP_3)
	v_subrev_co_ci_u32_e64 v8, null, 0, v3, vcc_lo
	v_subrev_co_ci_u32_e64 v3, null, s19, v3, vcc_lo
	v_cndmask_b32_e64 v9, 0, -1, s2
	v_cmp_le_u32_e64 s2, s18, v7
	v_cmp_le_u32_e32 vcc_lo, s19, v5
	s_delay_alu instid0(VALU_DEP_2) | instskip(SKIP_3) | instid1(VALU_DEP_3)
	v_cndmask_b32_e64 v10, 0, -1, s2
	v_cmp_le_u32_e64 s2, s19, v8
	v_cndmask_b32_e64 v12, 0, -1, vcc_lo
	v_cmp_eq_u32_e32 vcc_lo, s19, v8
	v_cndmask_b32_e64 v11, 0, -1, s2
	s_delay_alu instid0(VALU_DEP_1) | instskip(SKIP_1) | instid1(VALU_DEP_1)
	v_cndmask_b32_e32 v8, v11, v10, vcc_lo
	v_sub_co_u32 v10, vcc_lo, v7, s18
	v_subrev_co_ci_u32_e64 v3, null, 0, v3, vcc_lo
	v_cmp_eq_u32_e32 vcc_lo, s19, v5
	v_cndmask_b32_e32 v3, v12, v9, vcc_lo
	v_cmp_ne_u32_e32 vcc_lo, 0, v8
	v_cndmask_b32_e32 v5, v7, v10, vcc_lo
	s_delay_alu instid0(VALU_DEP_3) | instskip(NEXT) | instid1(VALU_DEP_2)
	v_cmp_ne_u32_e32 vcc_lo, 0, v3
	v_cndmask_b32_e32 v6, v6, v5, vcc_lo
	s_and_not1_saveexec_b32 s2, s3
	s_cbranch_execz .LBB13_19
.LBB13_21:
	v_cvt_f32_u32_e32 v3, s18
	s_sub_co_i32 s3, 0, s18
	s_delay_alu instid0(VALU_DEP_1) | instskip(SKIP_1) | instid1(TRANS32_DEP_1)
	v_rcp_iflag_f32_e32 v3, v3
	v_nop
	v_mul_f32_e32 v3, 0x4f7ffffe, v3
	s_delay_alu instid0(VALU_DEP_1) | instskip(NEXT) | instid1(VALU_DEP_1)
	v_cvt_u32_f32_e32 v3, v3
	v_mul_lo_u32 v5, s3, v3
	s_delay_alu instid0(VALU_DEP_1) | instskip(NEXT) | instid1(VALU_DEP_1)
	v_mul_hi_u32 v5, v3, v5
	v_add_nc_u32_e32 v3, v3, v5
	s_delay_alu instid0(VALU_DEP_1) | instskip(NEXT) | instid1(VALU_DEP_1)
	v_mul_hi_u32 v3, v4, v3
	v_mul_lo_u32 v3, v3, s18
	s_delay_alu instid0(VALU_DEP_1) | instskip(NEXT) | instid1(VALU_DEP_1)
	v_sub_nc_u32_e32 v3, v4, v3
	v_subrev_nc_u32_e32 v5, s18, v3
	v_cmp_le_u32_e32 vcc_lo, s18, v3
	s_delay_alu instid0(VALU_DEP_2) | instskip(NEXT) | instid1(VALU_DEP_1)
	v_cndmask_b32_e32 v3, v3, v5, vcc_lo
	v_subrev_nc_u32_e32 v5, s18, v3
	v_cmp_le_u32_e32 vcc_lo, s18, v3
	s_delay_alu instid0(VALU_DEP_2)
	v_cndmask_b32_e32 v6, v3, v5, vcc_lo
	s_or_b32 exec_lo, exec_lo, s2
	s_cmp_eq_u64 s[6:7], 0
	s_cbranch_scc1 .LBB13_44
.LBB13_22:
	s_mul_u64 s[16:17], s[24:25], s[20:21]
                                        ; implicit-def: $vgpr10_vgpr11
	s_mov_b32 s2, exec_lo
	v_dual_mov_b32 v8, 0 :: v_dual_bitop2_b32 v9, s17, v1 bitop3:0x54
	s_delay_alu instid0(VALU_DEP_1)
	v_cmpx_ne_u64_e32 0, v[8:9]
	s_xor_b32 s3, exec_lo, s2
	s_cbranch_execz .LBB13_24
; %bb.23:
	s_ashr_i32 s18, s17, 31
	s_mov_b32 s35, 0
	s_mov_b32 s19, s18
	v_dual_mov_b32 v15, v8 :: v_dual_ashrrev_i32 v10, 31, v1
	s_add_nc_u64 s[24:25], s[16:17], s[18:19]
	v_dual_mov_b32 v23, v8 :: v_dual_mov_b32 v9, v8
	s_xor_b64 s[24:25], s[24:25], s[18:19]
	s_delay_alu instid0(VALU_DEP_2) | instskip(SKIP_3) | instid1(VALU_DEP_1)
	v_mov_b32_e32 v11, v10
	s_cvt_f32_u32 s2, s24
	s_cvt_f32_u32 s19, s25
	s_sub_nc_u64 s[28:29], 0, s[24:25]
	v_add_nc_u64_e32 v[12:13], v[0:1], v[10:11]
	s_delay_alu instid0(SALU_CYCLE_1) | instskip(SKIP_1) | instid1(SALU_CYCLE_2)
	s_fmamk_f32 s2, s19, 0x4f800000, s2
	v_mov_b32_e32 v17, v8
	v_s_rcp_f32 s2, s2
	s_delay_alu instid0(VALU_DEP_2) | instskip(NEXT) | instid1(VALU_DEP_3)
	v_xor_b32_e32 v14, v12, v10
	v_xor_b32_e32 v16, v13, v10
	;; [unrolled: 1-line block ×3, first 2 shown]
	s_delay_alu instid0(TRANS32_DEP_1) | instskip(NEXT) | instid1(SALU_CYCLE_3)
	s_mul_f32 s2, s2, 0x5f7ffffc
	s_mul_f32 s19, s2, 0x2f800000
	s_delay_alu instid0(SALU_CYCLE_3) | instskip(NEXT) | instid1(SALU_CYCLE_3)
	s_trunc_f32 s19, s19
	s_fmamk_f32 s2, s19, 0xcf800000, s2
	s_cvt_u32_f32 s27, s19
	s_delay_alu instid0(SALU_CYCLE_2) | instskip(NEXT) | instid1(SALU_CYCLE_3)
	s_cvt_u32_f32 s26, s2
	s_mul_u64 s[30:31], s[28:29], s[26:27]
	s_delay_alu instid0(SALU_CYCLE_1)
	s_mul_hi_u32 s37, s26, s31
	s_mul_i32 s36, s26, s31
	s_mul_hi_u32 s34, s26, s30
	s_mul_i32 s19, s27, s30
	s_add_nc_u64 s[36:37], s[34:35], s[36:37]
	s_mul_hi_u32 s2, s27, s30
	s_mul_hi_u32 s21, s27, s31
	s_add_co_u32 s19, s36, s19
	s_add_co_ci_u32 s34, s37, s2
	s_mul_i32 s30, s27, s31
	s_add_co_ci_u32 s31, s21, 0
	s_delay_alu instid0(SALU_CYCLE_1) | instskip(NEXT) | instid1(SALU_CYCLE_1)
	s_add_nc_u64 s[30:31], s[34:35], s[30:31]
	s_add_co_u32 s26, s26, s30
	s_cselect_b32 s2, -1, 0
	s_delay_alu instid0(SALU_CYCLE_1) | instskip(SKIP_1) | instid1(SALU_CYCLE_1)
	s_cmp_lg_u32 s2, 0
	s_add_co_ci_u32 s27, s27, s31
	s_mul_u64 s[28:29], s[28:29], s[26:27]
	s_delay_alu instid0(SALU_CYCLE_1)
	s_mul_hi_u32 s31, s26, s29
	s_mul_i32 s30, s26, s29
	s_mul_hi_u32 s34, s26, s28
	s_mul_i32 s19, s27, s28
	s_add_nc_u64 s[30:31], s[34:35], s[30:31]
	s_mul_hi_u32 s2, s27, s28
	s_mul_hi_u32 s21, s27, s29
	s_add_co_u32 s19, s30, s19
	s_add_co_ci_u32 s34, s31, s2
	s_mul_i32 s28, s27, s29
	s_add_co_ci_u32 s29, s21, 0
	s_delay_alu instid0(SALU_CYCLE_1) | instskip(NEXT) | instid1(SALU_CYCLE_1)
	s_add_nc_u64 s[28:29], s[34:35], s[28:29]
	s_add_co_u32 s2, s26, s28
	s_cselect_b32 s19, -1, 0
	v_mul_hi_u32 v22, v14, s2
	s_cmp_lg_u32 s19, 0
	s_add_co_ci_u32 s34, s27, s29
	s_mov_b64 s[26:27], 0xffffffff
	v_mul_u64_e32 v[18:19], s[34:35], v[14:15]
	s_and_b64 s[26:27], s[2:3], s[26:27]
	v_mul_u64_e32 v[20:21], s[34:35], v[16:17]
	v_mul_u64_e32 v[12:13], s[26:27], v[16:17]
	s_delay_alu instid0(VALU_DEP_3) | instskip(NEXT) | instid1(VALU_DEP_1)
	v_add_nc_u64_e32 v[18:19], v[22:23], v[18:19]
	v_add_co_u32 v3, vcc_lo, v18, v12
	s_delay_alu instid0(VALU_DEP_2) | instskip(SKIP_1) | instid1(VALU_DEP_1)
	v_add_co_ci_u32_e32 v8, vcc_lo, v19, v13, vcc_lo
	v_add_co_ci_u32_e32 v21, vcc_lo, 0, v21, vcc_lo
	v_add_nc_u64_e32 v[8:9], v[8:9], v[20:21]
	s_delay_alu instid0(VALU_DEP_1) | instskip(NEXT) | instid1(VALU_DEP_1)
	v_mul_u64_e32 v[12:13], s[24:25], v[8:9]
	v_sub_co_u32 v5, vcc_lo, v14, v12
	v_add_nc_u64_e32 v[14:15], 1, v[8:9]
	s_delay_alu instid0(VALU_DEP_3) | instskip(SKIP_1) | instid1(VALU_DEP_4)
	v_sub_nc_u32_e32 v3, v16, v13
	v_sub_co_ci_u32_e64 v11, null, v16, v13, vcc_lo
	v_sub_co_u32 v7, s2, v5, s24
	s_delay_alu instid0(VALU_DEP_3) | instskip(NEXT) | instid1(VALU_DEP_2)
	v_subrev_co_ci_u32_e64 v3, null, s25, v3, vcc_lo
	v_cmp_le_u32_e32 vcc_lo, s24, v7
	s_delay_alu instid0(VALU_DEP_2) | instskip(SKIP_1) | instid1(VALU_DEP_2)
	v_subrev_co_ci_u32_e64 v3, null, 0, v3, s2
	v_cndmask_b32_e64 v7, 0, -1, vcc_lo
	v_cmp_le_u32_e32 vcc_lo, s25, v3
	v_cndmask_b32_e64 v12, 0, -1, vcc_lo
	v_cmp_le_u32_e32 vcc_lo, s24, v5
	;; [unrolled: 2-line block ×3, first 2 shown]
	v_cndmask_b32_e64 v16, 0, -1, vcc_lo
	v_cmp_eq_u32_e32 vcc_lo, s25, v3
	v_cndmask_b32_e32 v3, v12, v7, vcc_lo
	v_cmp_eq_u32_e32 vcc_lo, s25, v11
	v_add_nc_u64_e32 v[12:13], 2, v[8:9]
	v_dual_mov_b32 v11, v10 :: v_dual_cndmask_b32 v5, v16, v5, vcc_lo
	s_delay_alu instid0(VALU_DEP_4) | instskip(NEXT) | instid1(VALU_DEP_2)
	v_cmp_ne_u32_e32 vcc_lo, 0, v3
	v_cmp_ne_u32_e64 s2, 0, v5
	s_delay_alu instid0(VALU_DEP_4) | instskip(NEXT) | instid1(VALU_DEP_1)
	v_dual_cndmask_b32 v3, v15, v13, vcc_lo :: v_dual_cndmask_b32 v5, v14, v12, vcc_lo
	v_dual_cndmask_b32 v3, v9, v3, s2 :: v_dual_cndmask_b32 v5, v8, v5, s2
	s_delay_alu instid0(VALU_DEP_1) | instskip(NEXT) | instid1(VALU_DEP_2)
	v_xor_b32_e32 v9, v3, v10
	v_xor_b32_e32 v8, v5, v10
	s_delay_alu instid0(VALU_DEP_1)
	v_sub_nc_u64_e32 v[10:11], v[8:9], v[10:11]
.LBB13_24:
	s_and_not1_saveexec_b32 s2, s3
	s_cbranch_execz .LBB13_26
; %bb.25:
	v_cvt_f32_u32_e32 v3, s16
	s_sub_co_i32 s3, 0, s16
	v_mov_b32_e32 v11, 0
	s_delay_alu instid0(VALU_DEP_2) | instskip(SKIP_1) | instid1(TRANS32_DEP_1)
	v_rcp_iflag_f32_e32 v3, v3
	v_nop
	v_mul_f32_e32 v3, 0x4f7ffffe, v3
	s_delay_alu instid0(VALU_DEP_1) | instskip(NEXT) | instid1(VALU_DEP_1)
	v_cvt_u32_f32_e32 v3, v3
	v_mul_lo_u32 v5, s3, v3
	s_delay_alu instid0(VALU_DEP_1) | instskip(NEXT) | instid1(VALU_DEP_1)
	v_mul_hi_u32 v5, v3, v5
	v_add_nc_u32_e32 v3, v3, v5
	s_delay_alu instid0(VALU_DEP_1) | instskip(NEXT) | instid1(VALU_DEP_1)
	v_mul_hi_u32 v3, v0, v3
	v_mul_lo_u32 v5, v3, s16
	s_delay_alu instid0(VALU_DEP_1) | instskip(NEXT) | instid1(VALU_DEP_1)
	v_sub_nc_u32_e32 v5, v0, v5
	v_subrev_nc_u32_e32 v8, s16, v5
	v_cmp_le_u32_e32 vcc_lo, s16, v5
	s_delay_alu instid0(VALU_DEP_2) | instskip(NEXT) | instid1(VALU_DEP_1)
	v_dual_add_nc_u32 v7, 1, v3 :: v_dual_cndmask_b32 v5, v5, v8, vcc_lo
	v_cndmask_b32_e32 v3, v3, v7, vcc_lo
	s_delay_alu instid0(VALU_DEP_2) | instskip(NEXT) | instid1(VALU_DEP_2)
	v_cmp_le_u32_e32 vcc_lo, s16, v5
	v_add_nc_u32_e32 v7, 1, v3
	s_delay_alu instid0(VALU_DEP_1)
	v_cndmask_b32_e32 v10, v3, v7, vcc_lo
.LBB13_26:
	s_or_b32 exec_lo, exec_lo, s2
	s_delay_alu instid0(VALU_DEP_1) | instskip(SKIP_1) | instid1(VALU_DEP_1)
	v_dual_mov_b32 v12, 0 :: v_dual_bitop2_b32 v13, s9, v11 bitop3:0x54
                                        ; implicit-def: $vgpr8_vgpr9
	s_mov_b32 s2, exec_lo
	v_cmpx_ne_u64_e32 0, v[12:13]
	s_xor_b32 s3, exec_lo, s2
	s_cbranch_execz .LBB13_28
; %bb.27:
	s_cvt_f32_u32 s2, s8
	s_cvt_f32_u32 s18, s9
	s_sub_nc_u64 s[24:25], 0, s[8:9]
	s_mov_b32 s29, 0
	v_dual_mov_b32 v8, v10 :: v_dual_mov_b32 v9, v12
	s_fmamk_f32 s2, s18, 0x4f800000, s2
	v_dual_mov_b32 v14, v11 :: v_dual_mov_b32 v15, v12
	v_dual_mov_b32 v19, v12 :: v_dual_mov_b32 v13, v12
	s_delay_alu instid0(SALU_CYCLE_1) | instskip(NEXT) | instid1(TRANS32_DEP_1)
	v_s_rcp_f32 s2, s2
	s_mul_f32 s2, s2, 0x5f7ffffc
	s_delay_alu instid0(SALU_CYCLE_3) | instskip(NEXT) | instid1(SALU_CYCLE_3)
	s_mul_f32 s18, s2, 0x2f800000
	s_trunc_f32 s18, s18
	s_delay_alu instid0(SALU_CYCLE_3) | instskip(SKIP_1) | instid1(SALU_CYCLE_2)
	s_fmamk_f32 s2, s18, 0xcf800000, s2
	s_cvt_u32_f32 s19, s18
	s_cvt_u32_f32 s18, s2
	s_delay_alu instid0(SALU_CYCLE_3) | instskip(NEXT) | instid1(SALU_CYCLE_1)
	s_mul_u64 s[26:27], s[24:25], s[18:19]
	s_mul_hi_u32 s31, s18, s27
	s_mul_i32 s30, s18, s27
	s_mul_hi_u32 s28, s18, s26
	s_mul_i32 s21, s19, s26
	s_add_nc_u64 s[30:31], s[28:29], s[30:31]
	s_mul_hi_u32 s2, s19, s26
	s_mul_hi_u32 s33, s19, s27
	s_add_co_u32 s21, s30, s21
	s_add_co_ci_u32 s28, s31, s2
	s_mul_i32 s26, s19, s27
	s_add_co_ci_u32 s27, s33, 0
	s_delay_alu instid0(SALU_CYCLE_1) | instskip(NEXT) | instid1(SALU_CYCLE_1)
	s_add_nc_u64 s[26:27], s[28:29], s[26:27]
	s_add_co_u32 s18, s18, s26
	s_cselect_b32 s2, -1, 0
	s_delay_alu instid0(SALU_CYCLE_1) | instskip(SKIP_1) | instid1(SALU_CYCLE_1)
	s_cmp_lg_u32 s2, 0
	s_add_co_ci_u32 s19, s19, s27
	s_mul_u64 s[24:25], s[24:25], s[18:19]
	s_delay_alu instid0(SALU_CYCLE_1)
	s_mul_hi_u32 s27, s18, s25
	s_mul_i32 s26, s18, s25
	s_mul_hi_u32 s28, s18, s24
	s_mul_i32 s21, s19, s24
	s_add_nc_u64 s[26:27], s[28:29], s[26:27]
	s_mul_hi_u32 s2, s19, s24
	s_mul_hi_u32 s30, s19, s25
	s_add_co_u32 s21, s26, s21
	s_add_co_ci_u32 s28, s27, s2
	s_mul_i32 s24, s19, s25
	s_add_co_ci_u32 s25, s30, 0
	s_delay_alu instid0(SALU_CYCLE_1) | instskip(NEXT) | instid1(SALU_CYCLE_1)
	s_add_nc_u64 s[24:25], s[28:29], s[24:25]
	s_add_co_u32 s2, s18, s24
	s_cselect_b32 s18, -1, 0
	v_nop
	v_mul_hi_u32 v18, v10, s2
	s_cmp_lg_u32 s18, 0
	s_add_co_ci_u32 s28, s19, s25
	s_mov_b64 s[18:19], 0xffffffff
	v_mul_u64_e32 v[8:9], s[28:29], v[8:9]
	s_and_b64 s[18:19], s[2:3], s[18:19]
	s_delay_alu instid0(SALU_CYCLE_1) | instskip(SKIP_1) | instid1(VALU_DEP_3)
	v_mul_u64_e32 v[16:17], s[18:19], v[14:15]
	v_mul_u64_e32 v[14:15], s[28:29], v[14:15]
	v_add_nc_u64_e32 v[8:9], v[18:19], v[8:9]
	s_delay_alu instid0(VALU_DEP_1) | instskip(NEXT) | instid1(VALU_DEP_2)
	v_add_co_u32 v3, vcc_lo, v8, v16
	v_add_co_ci_u32_e32 v12, vcc_lo, v9, v17, vcc_lo
	s_delay_alu instid0(VALU_DEP_4) | instskip(NEXT) | instid1(VALU_DEP_1)
	v_add_co_ci_u32_e32 v15, vcc_lo, 0, v15, vcc_lo
	v_add_nc_u64_e32 v[8:9], v[12:13], v[14:15]
	s_delay_alu instid0(VALU_DEP_1) | instskip(NEXT) | instid1(VALU_DEP_1)
	v_mul_u64_e32 v[8:9], s[8:9], v[8:9]
	v_sub_nc_u32_e32 v3, v11, v9
	s_delay_alu instid0(VALU_DEP_2) | instskip(NEXT) | instid1(VALU_DEP_1)
	v_sub_co_u32 v5, vcc_lo, v10, v8
	v_sub_co_ci_u32_e64 v7, null, v11, v9, vcc_lo
	s_delay_alu instid0(VALU_DEP_3) | instskip(NEXT) | instid1(VALU_DEP_3)
	v_subrev_co_ci_u32_e64 v3, null, s9, v3, vcc_lo
	v_sub_co_u32 v8, vcc_lo, v5, s8
	v_cmp_le_u32_e64 s2, s8, v5
	s_delay_alu instid0(VALU_DEP_3) | instskip(SKIP_1) | instid1(VALU_DEP_3)
	v_subrev_co_ci_u32_e64 v9, null, 0, v3, vcc_lo
	v_subrev_co_ci_u32_e64 v3, null, s9, v3, vcc_lo
	v_cndmask_b32_e64 v10, 0, -1, s2
	v_cmp_le_u32_e64 s2, s8, v8
	v_cmp_le_u32_e32 vcc_lo, s9, v7
	s_delay_alu instid0(VALU_DEP_2) | instskip(SKIP_3) | instid1(VALU_DEP_3)
	v_cndmask_b32_e64 v11, 0, -1, s2
	v_cmp_le_u32_e64 s2, s9, v9
	v_cndmask_b32_e64 v13, 0, -1, vcc_lo
	v_cmp_eq_u32_e32 vcc_lo, s9, v9
	v_cndmask_b32_e64 v12, 0, -1, s2
	s_delay_alu instid0(VALU_DEP_1) | instskip(SKIP_1) | instid1(VALU_DEP_1)
	v_cndmask_b32_e32 v9, v12, v11, vcc_lo
	v_sub_co_u32 v11, vcc_lo, v8, s8
	v_subrev_co_ci_u32_e64 v3, null, 0, v3, vcc_lo
	v_cmp_eq_u32_e32 vcc_lo, s9, v7
	v_cndmask_b32_e32 v3, v13, v10, vcc_lo
	v_cmp_ne_u32_e32 vcc_lo, 0, v9
	v_cndmask_b32_e32 v7, v8, v11, vcc_lo
	s_delay_alu instid0(VALU_DEP_3) | instskip(NEXT) | instid1(VALU_DEP_2)
	v_cmp_ne_u32_e32 vcc_lo, 0, v3
                                        ; implicit-def: $vgpr10_vgpr11
	v_cndmask_b32_e32 v8, v5, v7, vcc_lo
.LBB13_28:
	s_and_not1_saveexec_b32 s2, s3
	s_cbranch_execz .LBB13_30
; %bb.29:
	v_cvt_f32_u32_e32 v3, s8
	s_sub_co_i32 s3, 0, s8
	s_delay_alu instid0(VALU_DEP_1) | instskip(SKIP_1) | instid1(TRANS32_DEP_1)
	v_rcp_iflag_f32_e32 v3, v3
	v_nop
	v_mul_f32_e32 v3, 0x4f7ffffe, v3
	s_delay_alu instid0(VALU_DEP_1) | instskip(NEXT) | instid1(VALU_DEP_1)
	v_cvt_u32_f32_e32 v3, v3
	v_mul_lo_u32 v5, s3, v3
	s_delay_alu instid0(VALU_DEP_1) | instskip(NEXT) | instid1(VALU_DEP_1)
	v_mul_hi_u32 v5, v3, v5
	v_add_nc_u32_e32 v3, v3, v5
	s_delay_alu instid0(VALU_DEP_1) | instskip(NEXT) | instid1(VALU_DEP_1)
	v_mul_hi_u32 v3, v10, v3
	v_mul_lo_u32 v3, v3, s8
	s_delay_alu instid0(VALU_DEP_1) | instskip(NEXT) | instid1(VALU_DEP_1)
	v_sub_nc_u32_e32 v3, v10, v3
	v_subrev_nc_u32_e32 v5, s8, v3
	v_cmp_le_u32_e32 vcc_lo, s8, v3
	s_delay_alu instid0(VALU_DEP_2) | instskip(NEXT) | instid1(VALU_DEP_1)
	v_cndmask_b32_e32 v3, v3, v5, vcc_lo
	v_subrev_nc_u32_e32 v5, s8, v3
	v_cmp_le_u32_e32 vcc_lo, s8, v3
	s_delay_alu instid0(VALU_DEP_2)
	v_cndmask_b32_e32 v8, v3, v5, vcc_lo
.LBB13_30:
	s_or_b32 exec_lo, exec_lo, s2
	v_mul_lo_u32 v3, v4, s20
	s_load_b96 s[0:2], s[0:1], 0x50
	v_add_nc_u32_e32 v4, 1, v6
	v_cvt_f32_i32_e32 v6, v6
	s_mul_u64 s[18:19], s[14:15], s[12:13]
	s_delay_alu instid0(VALU_DEP_3) | instskip(SKIP_3) | instid1(VALU_DEP_4)
	v_dual_ashrrev_i32 v9, 31, v8 :: v_dual_sub_nc_u32 v3, v0, v3
	v_add_nc_u32_e32 v5, 1, v2
	v_cvt_f32_i32_e32 v2, v2
	v_cvt_f32_i32_e32 v4, v4
	v_add_nc_u32_e32 v7, 1, v3
	s_delay_alu instid0(VALU_DEP_4) | instskip(SKIP_2) | instid1(VALU_DEP_2)
	v_cvt_f32_i32_e32 v5, v5
	v_cvt_f32_i32_e32 v3, v3
	s_wait_kmcnt 0x0
	v_dual_mul_f32 v2, s0, v2 :: v_dual_mul_f32 v5, s0, v5
	v_dual_mul_f32 v6, s1, v6 :: v_dual_mul_f32 v4, s1, v4
	v_cvt_f32_i32_e32 v7, v7
	s_delay_alu instid0(VALU_DEP_3) | instskip(NEXT) | instid1(VALU_DEP_4)
	v_ceil_f32_e32 v2, v2
	v_ceil_f32_e32 v5, v5
	s_delay_alu instid0(VALU_DEP_4) | instskip(SKIP_1) | instid1(VALU_DEP_4)
	v_ceil_f32_e32 v6, v6
	v_ceil_f32_e32 v4, v4
	v_cvt_i32_f32_e32 v2, v2
	s_delay_alu instid0(VALU_DEP_4)
	v_cvt_i32_f32_e32 v5, v5
	v_mul_f32_e32 v7, s2, v7
	v_cvt_i32_f32_e32 v6, v6
	v_mul_f32_e32 v3, s2, v3
	v_cvt_i32_f32_e32 v4, v4
	v_min_i32_e32 v17, s10, v5
	v_ceil_f32_e32 v7, v7
	v_min_i32_e32 v16, s12, v6
	v_ceil_f32_e32 v3, v3
	v_min_i32_e32 v18, s12, v4
	v_min_i32_e32 v20, s10, v2
	v_cvt_i32_f32_e32 v7, v7
	v_cmp_gt_i32_e64 s0, v17, v2
	v_cvt_i32_f32_e32 v3, v3
	v_cmp_gt_i32_e64 s1, v18, v6
	s_mul_u64 s[10:11], s[18:19], s[10:11]
	v_min_i32_e32 v19, s14, v7
	s_mul_u64 s[12:13], s[16:17], s[8:9]
	v_min_i32_e32 v21, s14, v3
	s_mov_b64 s[16:17], 0
	s_delay_alu instid0(VALU_DEP_2)
	v_cmp_gt_i32_e64 s2, v19, v3
	s_branch .LBB13_33
.LBB13_31:                              ;   in Loop: Header=BB13_33 Depth=1
	s_or_b32 exec_lo, exec_lo, s20
.LBB13_32:                              ;   in Loop: Header=BB13_33 Depth=1
	s_delay_alu instid0(SALU_CYCLE_1) | instskip(SKIP_4) | instid1(VALU_DEP_3)
	s_or_b32 exec_lo, exec_lo, s3
	v_bfe_u32 v2, v22, 16, 1
	s_add_nc_u64 s[16:17], s[16:17], 1
	v_cmp_o_f32_e32 vcc_lo, v22, v22
	v_cmp_le_u64_e64 s3, s[6:7], s[16:17]
	v_add3_u32 v2, v22, v2, 0x7fff
	s_delay_alu instid0(VALU_DEP_1) | instskip(SKIP_2) | instid1(VALU_DEP_3)
	v_lshrrev_b32_e32 v4, 16, v2
	v_lshl_add_u64 v[2:3], v[0:1], 1, s[22:23]
	v_add_nc_u64_e32 v[0:1], s[12:13], v[0:1]
	v_cndmask_b32_e32 v4, 0x7fc0, v4, vcc_lo
	s_and_b32 vcc_lo, exec_lo, s3
	global_store_b16 v[2:3], v4, off
	s_cbranch_vccnz .LBB13_44
.LBB13_33:                              ; =>This Loop Header: Depth=1
                                        ;     Child Loop BB13_37 Depth 2
                                        ;       Child Loop BB13_40 Depth 3
                                        ;         Child Loop BB13_42 Depth 4
	v_mov_b32_e32 v22, 0
	s_wait_xcnt 0x0
	s_and_saveexec_b32 s3, s0
	s_cbranch_execz .LBB13_32
; %bb.34:                               ;   in Loop: Header=BB13_33 Depth=1
	v_mad_nc_u64_u32 v[2:3], s16, s8, v[8:9]
	s_mul_i32 s20, s17, s8
	s_mul_i32 s21, s16, s9
	v_dual_mov_b32 v22, 0 :: v_dual_mov_b32 v4, v20
	s_delay_alu instid0(VALU_DEP_2) | instskip(SKIP_1) | instid1(VALU_DEP_1)
	v_add3_u32 v3, s21, s20, v3
	s_mov_b32 s20, 0
	v_mul_u64_e32 v[2:3], s[10:11], v[2:3]
	s_delay_alu instid0(VALU_DEP_1)
	v_lshl_add_u64 v[2:3], v[2:3], 1, s[4:5]
	s_branch .LBB13_37
.LBB13_35:                              ;   in Loop: Header=BB13_37 Depth=2
	s_or_b32 exec_lo, exec_lo, s24
.LBB13_36:                              ;   in Loop: Header=BB13_37 Depth=2
	s_delay_alu instid0(SALU_CYCLE_1) | instskip(SKIP_1) | instid1(VALU_DEP_1)
	s_or_b32 exec_lo, exec_lo, s21
	v_add_nc_u32_e32 v4, 1, v4
	v_cmp_ge_i32_e32 vcc_lo, v4, v17
	s_or_b32 s20, vcc_lo, s20
	s_delay_alu instid0(SALU_CYCLE_1)
	s_and_not1_b32 exec_lo, exec_lo, s20
	s_cbranch_execz .LBB13_31
.LBB13_37:                              ;   Parent Loop BB13_33 Depth=1
                                        ; =>  This Loop Header: Depth=2
                                        ;       Child Loop BB13_40 Depth 3
                                        ;         Child Loop BB13_42 Depth 4
	s_and_saveexec_b32 s21, s1
	s_cbranch_execz .LBB13_36
; %bb.38:                               ;   in Loop: Header=BB13_37 Depth=2
	v_dual_mov_b32 v10, v16 :: v_dual_ashrrev_i32 v5, 31, v4
	s_mov_b32 s24, 0
	s_delay_alu instid0(VALU_DEP_1) | instskip(NEXT) | instid1(VALU_DEP_1)
	v_mul_u64_e32 v[6:7], s[18:19], v[4:5]
	v_lshl_add_u64 v[6:7], v[6:7], 1, v[2:3]
	s_branch .LBB13_40
.LBB13_39:                              ;   in Loop: Header=BB13_40 Depth=3
	s_or_b32 exec_lo, exec_lo, s25
	v_add_nc_u32_e32 v10, 1, v10
	s_delay_alu instid0(VALU_DEP_1) | instskip(SKIP_1) | instid1(SALU_CYCLE_1)
	v_cmp_ge_i32_e32 vcc_lo, v10, v18
	s_or_b32 s24, vcc_lo, s24
	s_and_not1_b32 exec_lo, exec_lo, s24
	s_cbranch_execz .LBB13_35
.LBB13_40:                              ;   Parent Loop BB13_33 Depth=1
                                        ;     Parent Loop BB13_37 Depth=2
                                        ; =>    This Loop Header: Depth=3
                                        ;         Child Loop BB13_42 Depth 4
	s_and_saveexec_b32 s25, s2
	s_cbranch_execz .LBB13_39
; %bb.41:                               ;   in Loop: Header=BB13_40 Depth=3
	v_dual_mov_b32 v14, v21 :: v_dual_ashrrev_i32 v11, 31, v10
	s_mov_b32 s26, 0
	s_delay_alu instid0(VALU_DEP_1) | instskip(NEXT) | instid1(VALU_DEP_1)
	v_mul_u64_e32 v[12:13], s[14:15], v[10:11]
	v_lshl_add_u64 v[12:13], v[12:13], 1, v[6:7]
.LBB13_42:                              ;   Parent Loop BB13_33 Depth=1
                                        ;     Parent Loop BB13_37 Depth=2
                                        ;       Parent Loop BB13_40 Depth=3
                                        ; =>      This Inner Loop Header: Depth=4
	s_delay_alu instid0(VALU_DEP_3) | instskip(NEXT) | instid1(VALU_DEP_1)
	v_ashrrev_i32_e32 v15, 31, v14
	v_lshl_add_u64 v[24:25], v[14:15], 1, v[12:13]
	v_add_nc_u32_e32 v14, 1, v14
	global_load_u16 v5, v[24:25], off
	v_cmp_ge_i32_e32 vcc_lo, v14, v19
	s_or_b32 s26, vcc_lo, s26
	s_wait_loadcnt 0x0
	v_lshlrev_b32_e32 v5, 16, v5
	s_delay_alu instid0(VALU_DEP_1)
	v_add_f32_e32 v22, v22, v5
	s_wait_xcnt 0x0
	s_and_not1_b32 exec_lo, exec_lo, s26
	s_cbranch_execnz .LBB13_42
; %bb.43:                               ;   in Loop: Header=BB13_40 Depth=3
	s_or_b32 exec_lo, exec_lo, s26
	s_branch .LBB13_39
.LBB13_44:
	s_endpgm
	.section	.rodata,"a",@progbits
	.p2align	6, 0x0
	.amdhsa_kernel _ZN2at6native12_GLOBAL__N_137upsample_nearest3d_backward_out_frameIN3c108BFloat16EfXadL_ZNS0_40nearest_neighbor_bw_compute_source_indexEfiiEEEEvPKT_mmmmmmmmPS5_fff
		.amdhsa_group_segment_fixed_size 0
		.amdhsa_private_segment_fixed_size 0
		.amdhsa_kernarg_size 352
		.amdhsa_user_sgpr_count 2
		.amdhsa_user_sgpr_dispatch_ptr 0
		.amdhsa_user_sgpr_queue_ptr 0
		.amdhsa_user_sgpr_kernarg_segment_ptr 1
		.amdhsa_user_sgpr_dispatch_id 0
		.amdhsa_user_sgpr_kernarg_preload_length 0
		.amdhsa_user_sgpr_kernarg_preload_offset 0
		.amdhsa_user_sgpr_private_segment_size 0
		.amdhsa_wavefront_size32 1
		.amdhsa_uses_dynamic_stack 0
		.amdhsa_enable_private_segment 0
		.amdhsa_system_sgpr_workgroup_id_x 1
		.amdhsa_system_sgpr_workgroup_id_y 0
		.amdhsa_system_sgpr_workgroup_id_z 0
		.amdhsa_system_sgpr_workgroup_info 0
		.amdhsa_system_vgpr_workitem_id 0
		.amdhsa_next_free_vgpr 26
		.amdhsa_next_free_sgpr 39
		.amdhsa_named_barrier_count 0
		.amdhsa_reserve_vcc 1
		.amdhsa_float_round_mode_32 0
		.amdhsa_float_round_mode_16_64 0
		.amdhsa_float_denorm_mode_32 3
		.amdhsa_float_denorm_mode_16_64 3
		.amdhsa_fp16_overflow 0
		.amdhsa_memory_ordered 1
		.amdhsa_forward_progress 1
		.amdhsa_inst_pref_size 45
		.amdhsa_round_robin_scheduling 0
		.amdhsa_exception_fp_ieee_invalid_op 0
		.amdhsa_exception_fp_denorm_src 0
		.amdhsa_exception_fp_ieee_div_zero 0
		.amdhsa_exception_fp_ieee_overflow 0
		.amdhsa_exception_fp_ieee_underflow 0
		.amdhsa_exception_fp_ieee_inexact 0
		.amdhsa_exception_int_div_zero 0
	.end_amdhsa_kernel
	.section	.text._ZN2at6native12_GLOBAL__N_137upsample_nearest3d_backward_out_frameIN3c108BFloat16EfXadL_ZNS0_40nearest_neighbor_bw_compute_source_indexEfiiEEEEvPKT_mmmmmmmmPS5_fff,"axG",@progbits,_ZN2at6native12_GLOBAL__N_137upsample_nearest3d_backward_out_frameIN3c108BFloat16EfXadL_ZNS0_40nearest_neighbor_bw_compute_source_indexEfiiEEEEvPKT_mmmmmmmmPS5_fff,comdat
.Lfunc_end13:
	.size	_ZN2at6native12_GLOBAL__N_137upsample_nearest3d_backward_out_frameIN3c108BFloat16EfXadL_ZNS0_40nearest_neighbor_bw_compute_source_indexEfiiEEEEvPKT_mmmmmmmmPS5_fff, .Lfunc_end13-_ZN2at6native12_GLOBAL__N_137upsample_nearest3d_backward_out_frameIN3c108BFloat16EfXadL_ZNS0_40nearest_neighbor_bw_compute_source_indexEfiiEEEEvPKT_mmmmmmmmPS5_fff
                                        ; -- End function
	.set _ZN2at6native12_GLOBAL__N_137upsample_nearest3d_backward_out_frameIN3c108BFloat16EfXadL_ZNS0_40nearest_neighbor_bw_compute_source_indexEfiiEEEEvPKT_mmmmmmmmPS5_fff.num_vgpr, 26
	.set _ZN2at6native12_GLOBAL__N_137upsample_nearest3d_backward_out_frameIN3c108BFloat16EfXadL_ZNS0_40nearest_neighbor_bw_compute_source_indexEfiiEEEEvPKT_mmmmmmmmPS5_fff.num_agpr, 0
	.set _ZN2at6native12_GLOBAL__N_137upsample_nearest3d_backward_out_frameIN3c108BFloat16EfXadL_ZNS0_40nearest_neighbor_bw_compute_source_indexEfiiEEEEvPKT_mmmmmmmmPS5_fff.numbered_sgpr, 39
	.set _ZN2at6native12_GLOBAL__N_137upsample_nearest3d_backward_out_frameIN3c108BFloat16EfXadL_ZNS0_40nearest_neighbor_bw_compute_source_indexEfiiEEEEvPKT_mmmmmmmmPS5_fff.num_named_barrier, 0
	.set _ZN2at6native12_GLOBAL__N_137upsample_nearest3d_backward_out_frameIN3c108BFloat16EfXadL_ZNS0_40nearest_neighbor_bw_compute_source_indexEfiiEEEEvPKT_mmmmmmmmPS5_fff.private_seg_size, 0
	.set _ZN2at6native12_GLOBAL__N_137upsample_nearest3d_backward_out_frameIN3c108BFloat16EfXadL_ZNS0_40nearest_neighbor_bw_compute_source_indexEfiiEEEEvPKT_mmmmmmmmPS5_fff.uses_vcc, 1
	.set _ZN2at6native12_GLOBAL__N_137upsample_nearest3d_backward_out_frameIN3c108BFloat16EfXadL_ZNS0_40nearest_neighbor_bw_compute_source_indexEfiiEEEEvPKT_mmmmmmmmPS5_fff.uses_flat_scratch, 0
	.set _ZN2at6native12_GLOBAL__N_137upsample_nearest3d_backward_out_frameIN3c108BFloat16EfXadL_ZNS0_40nearest_neighbor_bw_compute_source_indexEfiiEEEEvPKT_mmmmmmmmPS5_fff.has_dyn_sized_stack, 0
	.set _ZN2at6native12_GLOBAL__N_137upsample_nearest3d_backward_out_frameIN3c108BFloat16EfXadL_ZNS0_40nearest_neighbor_bw_compute_source_indexEfiiEEEEvPKT_mmmmmmmmPS5_fff.has_recursion, 0
	.set _ZN2at6native12_GLOBAL__N_137upsample_nearest3d_backward_out_frameIN3c108BFloat16EfXadL_ZNS0_40nearest_neighbor_bw_compute_source_indexEfiiEEEEvPKT_mmmmmmmmPS5_fff.has_indirect_call, 0
	.section	.AMDGPU.csdata,"",@progbits
; Kernel info:
; codeLenInByte = 5736
; TotalNumSgprs: 41
; NumVgprs: 26
; ScratchSize: 0
; MemoryBound: 0
; FloatMode: 240
; IeeeMode: 1
; LDSByteSize: 0 bytes/workgroup (compile time only)
; SGPRBlocks: 0
; VGPRBlocks: 1
; NumSGPRsForWavesPerEU: 41
; NumVGPRsForWavesPerEU: 26
; NamedBarCnt: 0
; Occupancy: 16
; WaveLimiterHint : 0
; COMPUTE_PGM_RSRC2:SCRATCH_EN: 0
; COMPUTE_PGM_RSRC2:USER_SGPR: 2
; COMPUTE_PGM_RSRC2:TRAP_HANDLER: 0
; COMPUTE_PGM_RSRC2:TGID_X_EN: 1
; COMPUTE_PGM_RSRC2:TGID_Y_EN: 0
; COMPUTE_PGM_RSRC2:TGID_Z_EN: 0
; COMPUTE_PGM_RSRC2:TIDIG_COMP_CNT: 0
	.section	.text._ZN2at6native12_GLOBAL__N_137upsample_nearest3d_backward_out_frameIhlXadL_ZNS0_40nearest_neighbor_bw_compute_source_indexEfiiEEEEvPKT_mmmmmmmmPS3_fff,"axG",@progbits,_ZN2at6native12_GLOBAL__N_137upsample_nearest3d_backward_out_frameIhlXadL_ZNS0_40nearest_neighbor_bw_compute_source_indexEfiiEEEEvPKT_mmmmmmmmPS3_fff,comdat
	.globl	_ZN2at6native12_GLOBAL__N_137upsample_nearest3d_backward_out_frameIhlXadL_ZNS0_40nearest_neighbor_bw_compute_source_indexEfiiEEEEvPKT_mmmmmmmmPS3_fff ; -- Begin function _ZN2at6native12_GLOBAL__N_137upsample_nearest3d_backward_out_frameIhlXadL_ZNS0_40nearest_neighbor_bw_compute_source_indexEfiiEEEEvPKT_mmmmmmmmPS3_fff
	.p2align	8
	.type	_ZN2at6native12_GLOBAL__N_137upsample_nearest3d_backward_out_frameIhlXadL_ZNS0_40nearest_neighbor_bw_compute_source_indexEfiiEEEEvPKT_mmmmmmmmPS3_fff,@function
_ZN2at6native12_GLOBAL__N_137upsample_nearest3d_backward_out_frameIhlXadL_ZNS0_40nearest_neighbor_bw_compute_source_indexEfiiEEEEvPKT_mmmmmmmmPS3_fff: ; @_ZN2at6native12_GLOBAL__N_137upsample_nearest3d_backward_out_frameIhlXadL_ZNS0_40nearest_neighbor_bw_compute_source_indexEfiiEEEEvPKT_mmmmmmmmPS3_fff
; %bb.0:
	s_clause 0x2
	s_load_b32 s2, s[0:1], 0x6c
	s_load_b512 s[4:19], s[0:1], 0x0
	s_load_b128 s[20:23], s[0:1], 0x40
	s_bfe_u32 s3, ttmp6, 0x4000c
	v_mov_b32_e32 v2, 0
	s_add_co_i32 s3, s3, 1
	s_and_b32 s24, ttmp6, 15
	s_mul_i32 s3, ttmp9, s3
	s_getreg_b32 s25, hwreg(HW_REG_IB_STS2, 6, 4)
	v_mov_b32_e32 v1, v2
	s_add_co_i32 s24, s24, s3
	s_wait_kmcnt 0x0
	s_and_b32 s2, s2, 0xffff
	s_cmp_eq_u32 s25, 0
	s_cselect_b32 s3, ttmp9, s24
	s_mul_u64 s[24:25], s[18:19], s[16:17]
	v_mad_nc_u64_u32 v[0:1], s2, s3, v[0:1]
	s_mul_u64 s[2:3], s[24:25], s[8:9]
	s_delay_alu instid0(SALU_CYCLE_1)
	s_mul_u64 s[2:3], s[2:3], s[20:21]
	s_delay_alu instid0(VALU_DEP_1) | instid1(SALU_CYCLE_1)
	v_cmp_gt_u64_e32 vcc_lo, s[2:3], v[0:1]
	s_and_saveexec_b32 s2, vcc_lo
	s_cbranch_execz .LBB14_44
; %bb.1:
	v_or_b32_e32 v3, s19, v1
	s_delay_alu instid0(VALU_DEP_1) | instskip(SKIP_1) | instid1(SALU_CYCLE_1)
	v_cmp_ne_u64_e32 vcc_lo, 0, v[2:3]
                                        ; implicit-def: $vgpr2_vgpr3
	s_and_saveexec_b32 s2, vcc_lo
	s_xor_b32 s3, exec_lo, s2
	s_cbranch_execz .LBB14_3
; %bb.2:
	s_cvt_f32_u32 s2, s18
	s_cvt_f32_u32 s26, s19
	s_sub_nc_u64 s[28:29], 0, s[18:19]
	s_mov_b32 s35, 0
	v_dual_mov_b32 v3, 0 :: v_dual_mov_b32 v2, v0
	s_fmamk_f32 s2, s26, 0x4f800000, s2
	s_delay_alu instid0(SALU_CYCLE_3) | instskip(NEXT) | instid1(TRANS32_DEP_1)
	v_s_rcp_f32 s2, s2
	s_mul_f32 s2, s2, 0x5f7ffffc
	s_delay_alu instid0(SALU_CYCLE_3) | instskip(NEXT) | instid1(SALU_CYCLE_3)
	s_mul_f32 s26, s2, 0x2f800000
	s_trunc_f32 s26, s26
	s_delay_alu instid0(SALU_CYCLE_3) | instskip(SKIP_1) | instid1(SALU_CYCLE_2)
	s_fmamk_f32 s2, s26, 0xcf800000, s2
	s_cvt_u32_f32 s27, s26
	s_cvt_u32_f32 s26, s2
	s_delay_alu instid0(SALU_CYCLE_3) | instskip(NEXT) | instid1(SALU_CYCLE_1)
	s_mul_u64 s[30:31], s[28:29], s[26:27]
	s_mul_hi_u32 s37, s26, s31
	s_mul_i32 s36, s26, s31
	s_mul_hi_u32 s34, s26, s30
	s_mul_i32 s33, s27, s30
	s_add_nc_u64 s[36:37], s[34:35], s[36:37]
	s_mul_hi_u32 s2, s27, s30
	s_mul_hi_u32 s38, s27, s31
	s_mul_i32 s30, s27, s31
	s_add_co_u32 s31, s36, s33
	s_add_co_ci_u32 s34, s37, s2
	s_add_co_ci_u32 s31, s38, 0
	s_delay_alu instid0(SALU_CYCLE_1) | instskip(NEXT) | instid1(SALU_CYCLE_1)
	s_add_nc_u64 s[30:31], s[34:35], s[30:31]
	s_add_co_u32 s26, s26, s30
	s_cselect_b32 s2, -1, 0
	s_delay_alu instid0(SALU_CYCLE_1) | instskip(SKIP_1) | instid1(SALU_CYCLE_1)
	s_cmp_lg_u32 s2, 0
	s_add_co_ci_u32 s27, s27, s31
	s_mul_u64 s[28:29], s[28:29], s[26:27]
	s_delay_alu instid0(SALU_CYCLE_1)
	s_mul_hi_u32 s31, s26, s29
	s_mul_i32 s30, s26, s29
	s_mul_hi_u32 s34, s26, s28
	s_mul_i32 s33, s27, s28
	s_add_nc_u64 s[30:31], s[34:35], s[30:31]
	s_mul_hi_u32 s2, s27, s28
	s_mul_hi_u32 s36, s27, s29
	s_mul_i32 s28, s27, s29
	s_add_co_u32 s29, s30, s33
	s_add_co_ci_u32 s34, s31, s2
	s_add_co_ci_u32 s29, s36, 0
	s_delay_alu instid0(SALU_CYCLE_1) | instskip(NEXT) | instid1(SALU_CYCLE_1)
	s_add_nc_u64 s[28:29], s[34:35], s[28:29]
	s_add_co_u32 s2, s26, s28
	s_cselect_b32 s26, -1, 0
	s_delay_alu instid0(SALU_CYCLE_1)
	s_cmp_lg_u32 s26, 0
	s_add_co_ci_u32 s34, s27, s29
	s_mov_b64 s[26:27], 0xffffffff
	v_mul_u64_e32 v[4:5], s[34:35], v[2:3]
	v_mul_hi_u32 v2, v0, s2
	s_and_b64 s[26:27], s[2:3], s[26:27]
	s_delay_alu instid0(VALU_DEP_1) | instskip(SKIP_1) | instid1(VALU_DEP_1)
	v_add_nc_u64_e32 v[4:5], v[2:3], v[4:5]
	v_mov_b32_e32 v2, v1
	v_mul_u64_e32 v[6:7], s[26:27], v[2:3]
	v_mul_u64_e32 v[8:9], s[34:35], v[2:3]
	s_delay_alu instid0(VALU_DEP_2) | instskip(NEXT) | instid1(VALU_DEP_3)
	v_add_co_u32 v2, vcc_lo, v4, v6
	v_add_co_ci_u32_e32 v2, vcc_lo, v5, v7, vcc_lo
	s_delay_alu instid0(VALU_DEP_3) | instskip(NEXT) | instid1(VALU_DEP_1)
	v_add_co_ci_u32_e32 v9, vcc_lo, 0, v9, vcc_lo
	v_add_nc_u64_e32 v[2:3], v[2:3], v[8:9]
	s_delay_alu instid0(VALU_DEP_1) | instskip(NEXT) | instid1(VALU_DEP_1)
	v_mul_u64_e32 v[4:5], s[18:19], v[2:3]
	v_sub_nc_u32_e32 v6, v1, v5
	s_delay_alu instid0(VALU_DEP_2) | instskip(NEXT) | instid1(VALU_DEP_1)
	v_sub_co_u32 v4, vcc_lo, v0, v4
	v_sub_co_ci_u32_e64 v11, null, v1, v5, vcc_lo
	s_delay_alu instid0(VALU_DEP_3) | instskip(NEXT) | instid1(VALU_DEP_3)
	v_subrev_co_ci_u32_e64 v6, null, s19, v6, vcc_lo
	v_sub_co_u32 v8, s2, v4, s18
	v_cmp_le_u32_e32 vcc_lo, s18, v4
	s_delay_alu instid0(VALU_DEP_3) | instskip(NEXT) | instid1(VALU_DEP_3)
	v_subrev_co_ci_u32_e64 v9, null, 0, v6, s2
	v_cmp_le_u32_e64 s2, s18, v8
	v_add_nc_u64_e32 v[6:7], 2, v[2:3]
	v_cndmask_b32_e64 v12, 0, -1, vcc_lo
	s_delay_alu instid0(VALU_DEP_4) | instskip(SKIP_3) | instid1(VALU_DEP_1)
	v_cmp_eq_u32_e32 vcc_lo, s19, v9
	v_add_nc_u64_e32 v[4:5], 1, v[2:3]
	v_cndmask_b32_e64 v8, 0, -1, s2
	v_cmp_le_u32_e64 s2, s19, v9
	v_cndmask_b32_e64 v10, 0, -1, s2
	v_cmp_eq_u32_e64 s2, s19, v11
	s_delay_alu instid0(VALU_DEP_2) | instskip(SKIP_2) | instid1(VALU_DEP_3)
	v_cndmask_b32_e32 v8, v10, v8, vcc_lo
	v_cmp_le_u32_e32 vcc_lo, s19, v11
	v_cndmask_b32_e64 v9, 0, -1, vcc_lo
	v_cmp_ne_u32_e32 vcc_lo, 0, v8
	s_delay_alu instid0(VALU_DEP_2) | instskip(SKIP_1) | instid1(VALU_DEP_2)
	v_dual_cndmask_b32 v8, v9, v12, s2 :: v_dual_cndmask_b32 v4, v4, v6, vcc_lo
	v_cndmask_b32_e32 v5, v5, v7, vcc_lo
	v_cmp_ne_u32_e32 vcc_lo, 0, v8
	s_delay_alu instid0(VALU_DEP_2)
	v_dual_cndmask_b32 v3, v3, v5 :: v_dual_cndmask_b32 v2, v2, v4
.LBB14_3:
	s_and_not1_saveexec_b32 s2, s3
	s_cbranch_execz .LBB14_5
; %bb.4:
	v_cvt_f32_u32_e32 v2, s18
	s_sub_co_i32 s3, 0, s18
	s_delay_alu instid0(VALU_DEP_1) | instskip(SKIP_1) | instid1(TRANS32_DEP_1)
	v_rcp_iflag_f32_e32 v2, v2
	v_nop
	v_mul_f32_e32 v2, 0x4f7ffffe, v2
	s_delay_alu instid0(VALU_DEP_1) | instskip(NEXT) | instid1(VALU_DEP_1)
	v_cvt_u32_f32_e32 v2, v2
	v_mul_lo_u32 v3, s3, v2
	s_delay_alu instid0(VALU_DEP_1) | instskip(NEXT) | instid1(VALU_DEP_1)
	v_mul_hi_u32 v3, v2, v3
	v_add_nc_u32_e32 v2, v2, v3
	s_delay_alu instid0(VALU_DEP_1) | instskip(NEXT) | instid1(VALU_DEP_1)
	v_mul_hi_u32 v2, v0, v2
	v_mul_lo_u32 v3, v2, s18
	s_delay_alu instid0(VALU_DEP_1) | instskip(NEXT) | instid1(VALU_DEP_1)
	v_dual_add_nc_u32 v4, 1, v2 :: v_dual_sub_nc_u32 v3, v0, v3
	v_subrev_nc_u32_e32 v5, s18, v3
	v_cmp_le_u32_e32 vcc_lo, s18, v3
	s_delay_alu instid0(VALU_DEP_2) | instskip(NEXT) | instid1(VALU_DEP_1)
	v_dual_cndmask_b32 v3, v3, v5 :: v_dual_cndmask_b32 v2, v2, v4
	v_cmp_le_u32_e32 vcc_lo, s18, v3
	s_delay_alu instid0(VALU_DEP_2) | instskip(NEXT) | instid1(VALU_DEP_1)
	v_dual_mov_b32 v3, 0 :: v_dual_add_nc_u32 v4, 1, v2
	v_cndmask_b32_e32 v2, v2, v4, vcc_lo
.LBB14_5:
	s_or_b32 exec_lo, exec_lo, s2
	s_delay_alu instid0(VALU_DEP_1) | instskip(SKIP_1) | instid1(VALU_DEP_1)
	v_dual_mov_b32 v6, 0 :: v_dual_bitop2_b32 v7, s21, v3 bitop3:0x54
                                        ; implicit-def: $vgpr4_vgpr5
	s_mov_b32 s2, exec_lo
	v_cmpx_ne_u64_e32 0, v[6:7]
	s_xor_b32 s3, exec_lo, s2
	s_cbranch_execz .LBB14_7
; %bb.6:
	s_cvt_f32_u32 s2, s20
	s_cvt_f32_u32 s26, s21
	s_sub_nc_u64 s[28:29], 0, s[20:21]
	s_mov_b32 s35, 0
	v_dual_mov_b32 v4, v2 :: v_dual_mov_b32 v5, v6
	s_fmamk_f32 s2, s26, 0x4f800000, s2
	v_dual_mov_b32 v8, v3 :: v_dual_mov_b32 v9, v6
	v_dual_mov_b32 v13, v6 :: v_dual_mov_b32 v7, v6
	s_delay_alu instid0(SALU_CYCLE_1) | instskip(NEXT) | instid1(TRANS32_DEP_1)
	v_s_rcp_f32 s2, s2
	s_mul_f32 s2, s2, 0x5f7ffffc
	s_delay_alu instid0(SALU_CYCLE_3) | instskip(NEXT) | instid1(SALU_CYCLE_3)
	s_mul_f32 s26, s2, 0x2f800000
	s_trunc_f32 s26, s26
	s_delay_alu instid0(SALU_CYCLE_3) | instskip(SKIP_1) | instid1(SALU_CYCLE_2)
	s_fmamk_f32 s2, s26, 0xcf800000, s2
	s_cvt_u32_f32 s27, s26
	s_cvt_u32_f32 s26, s2
	s_delay_alu instid0(SALU_CYCLE_3) | instskip(NEXT) | instid1(SALU_CYCLE_1)
	s_mul_u64 s[30:31], s[28:29], s[26:27]
	s_mul_hi_u32 s37, s26, s31
	s_mul_i32 s36, s26, s31
	s_mul_hi_u32 s34, s26, s30
	s_mul_i32 s33, s27, s30
	s_add_nc_u64 s[36:37], s[34:35], s[36:37]
	s_mul_hi_u32 s2, s27, s30
	s_mul_hi_u32 s38, s27, s31
	s_mul_i32 s30, s27, s31
	s_add_co_u32 s31, s36, s33
	s_add_co_ci_u32 s34, s37, s2
	s_add_co_ci_u32 s31, s38, 0
	s_delay_alu instid0(SALU_CYCLE_1) | instskip(NEXT) | instid1(SALU_CYCLE_1)
	s_add_nc_u64 s[30:31], s[34:35], s[30:31]
	s_add_co_u32 s26, s26, s30
	s_cselect_b32 s2, -1, 0
	s_delay_alu instid0(SALU_CYCLE_1) | instskip(SKIP_1) | instid1(SALU_CYCLE_1)
	s_cmp_lg_u32 s2, 0
	s_add_co_ci_u32 s27, s27, s31
	s_mul_u64 s[28:29], s[28:29], s[26:27]
	s_delay_alu instid0(SALU_CYCLE_1)
	s_mul_hi_u32 s31, s26, s29
	s_mul_i32 s30, s26, s29
	s_mul_hi_u32 s34, s26, s28
	s_mul_i32 s33, s27, s28
	s_add_nc_u64 s[30:31], s[34:35], s[30:31]
	s_mul_hi_u32 s2, s27, s28
	s_mul_hi_u32 s36, s27, s29
	s_mul_i32 s28, s27, s29
	s_add_co_u32 s29, s30, s33
	s_add_co_ci_u32 s34, s31, s2
	s_add_co_ci_u32 s29, s36, 0
	s_delay_alu instid0(SALU_CYCLE_1) | instskip(NEXT) | instid1(SALU_CYCLE_1)
	s_add_nc_u64 s[28:29], s[34:35], s[28:29]
	s_add_co_u32 s2, s26, s28
	s_cselect_b32 s26, -1, 0
	v_nop
	v_mul_hi_u32 v12, v2, s2
	s_cmp_lg_u32 s26, 0
	s_add_co_ci_u32 s34, s27, s29
	s_mov_b64 s[26:27], 0xffffffff
	v_mul_u64_e32 v[4:5], s[34:35], v[4:5]
	s_and_b64 s[26:27], s[2:3], s[26:27]
	s_delay_alu instid0(SALU_CYCLE_1) | instskip(SKIP_1) | instid1(VALU_DEP_3)
	v_mul_u64_e32 v[10:11], s[26:27], v[8:9]
	v_mul_u64_e32 v[8:9], s[34:35], v[8:9]
	v_add_nc_u64_e32 v[4:5], v[12:13], v[4:5]
	s_delay_alu instid0(VALU_DEP_1) | instskip(NEXT) | instid1(VALU_DEP_2)
	v_add_co_u32 v4, vcc_lo, v4, v10
	v_add_co_ci_u32_e32 v6, vcc_lo, v5, v11, vcc_lo
	s_delay_alu instid0(VALU_DEP_4) | instskip(NEXT) | instid1(VALU_DEP_1)
	v_add_co_ci_u32_e32 v9, vcc_lo, 0, v9, vcc_lo
	v_add_nc_u64_e32 v[4:5], v[6:7], v[8:9]
	s_delay_alu instid0(VALU_DEP_1) | instskip(NEXT) | instid1(VALU_DEP_1)
	v_mul_u64_e32 v[6:7], s[20:21], v[4:5]
	v_sub_nc_u32_e32 v8, v3, v7
	s_delay_alu instid0(VALU_DEP_2) | instskip(NEXT) | instid1(VALU_DEP_1)
	v_sub_co_u32 v2, vcc_lo, v2, v6
	v_sub_co_ci_u32_e64 v7, null, v3, v7, vcc_lo
	s_delay_alu instid0(VALU_DEP_3) | instskip(NEXT) | instid1(VALU_DEP_3)
	v_subrev_co_ci_u32_e64 v6, null, s21, v8, vcc_lo
	v_sub_co_u32 v10, s2, v2, s20
	v_cmp_le_u32_e32 vcc_lo, s20, v2
	s_delay_alu instid0(VALU_DEP_3) | instskip(NEXT) | instid1(VALU_DEP_3)
	v_subrev_co_ci_u32_e64 v6, null, 0, v6, s2
	v_cmp_le_u32_e64 s2, s20, v10
	v_add_nc_u64_e32 v[8:9], 2, v[4:5]
	v_cndmask_b32_e64 v12, 0, -1, vcc_lo
	s_delay_alu instid0(VALU_DEP_4) | instskip(SKIP_3) | instid1(VALU_DEP_1)
	v_cmp_eq_u32_e32 vcc_lo, s21, v6
	v_add_nc_u64_e32 v[2:3], 1, v[4:5]
	v_cndmask_b32_e64 v10, 0, -1, s2
	v_cmp_le_u32_e64 s2, s21, v6
	v_cndmask_b32_e64 v11, 0, -1, s2
	v_cmp_eq_u32_e64 s2, s21, v7
	s_delay_alu instid0(VALU_DEP_2) | instskip(SKIP_2) | instid1(VALU_DEP_3)
	v_cndmask_b32_e32 v6, v11, v10, vcc_lo
	v_cmp_le_u32_e32 vcc_lo, s21, v7
	v_cndmask_b32_e64 v10, 0, -1, vcc_lo
	v_cmp_ne_u32_e32 vcc_lo, 0, v6
	s_delay_alu instid0(VALU_DEP_2) | instskip(SKIP_1) | instid1(VALU_DEP_2)
	v_cndmask_b32_e64 v6, v10, v12, s2
	v_dual_cndmask_b32 v2, v2, v8 :: v_dual_cndmask_b32 v3, v3, v9
	v_cmp_ne_u32_e32 vcc_lo, 0, v6
	s_delay_alu instid0(VALU_DEP_2)
	v_dual_cndmask_b32 v4, v4, v2 :: v_dual_cndmask_b32 v5, v5, v3
                                        ; implicit-def: $vgpr2_vgpr3
.LBB14_7:
	s_and_not1_saveexec_b32 s2, s3
	s_cbranch_execz .LBB14_9
; %bb.8:
	v_cvt_f32_u32_e32 v3, s20
	s_sub_co_i32 s3, 0, s20
	s_delay_alu instid0(VALU_DEP_1) | instskip(SKIP_1) | instid1(TRANS32_DEP_1)
	v_rcp_iflag_f32_e32 v3, v3
	v_nop
	v_mul_f32_e32 v3, 0x4f7ffffe, v3
	s_delay_alu instid0(VALU_DEP_1) | instskip(NEXT) | instid1(VALU_DEP_1)
	v_cvt_u32_f32_e32 v3, v3
	v_mul_lo_u32 v4, s3, v3
	s_delay_alu instid0(VALU_DEP_1) | instskip(NEXT) | instid1(VALU_DEP_1)
	v_mul_hi_u32 v4, v3, v4
	v_add_nc_u32_e32 v3, v3, v4
	s_delay_alu instid0(VALU_DEP_1) | instskip(NEXT) | instid1(VALU_DEP_1)
	v_mul_hi_u32 v3, v2, v3
	v_mul_lo_u32 v4, v3, s20
	s_delay_alu instid0(VALU_DEP_1) | instskip(NEXT) | instid1(VALU_DEP_1)
	v_dual_sub_nc_u32 v2, v2, v4 :: v_dual_add_nc_u32 v4, 1, v3
	v_subrev_nc_u32_e32 v5, s20, v2
	v_cmp_le_u32_e32 vcc_lo, s20, v2
	s_delay_alu instid0(VALU_DEP_2) | instskip(NEXT) | instid1(VALU_DEP_4)
	v_dual_cndmask_b32 v2, v2, v5 :: v_dual_mov_b32 v5, 0
	v_cndmask_b32_e32 v3, v3, v4, vcc_lo
	s_delay_alu instid0(VALU_DEP_2) | instskip(NEXT) | instid1(VALU_DEP_2)
	v_cmp_le_u32_e32 vcc_lo, s20, v2
	v_add_nc_u32_e32 v4, 1, v3
	s_delay_alu instid0(VALU_DEP_1)
	v_cndmask_b32_e32 v4, v3, v4, vcc_lo
.LBB14_9:
	s_or_b32 exec_lo, exec_lo, s2
	s_delay_alu instid0(VALU_DEP_1) | instskip(SKIP_1) | instid1(VALU_DEP_1)
	v_dual_mov_b32 v6, 0 :: v_dual_bitop2_b32 v7, s17, v5 bitop3:0x54
                                        ; implicit-def: $vgpr2_vgpr3
	s_mov_b32 s2, exec_lo
	v_cmpx_ne_u64_e32 0, v[6:7]
	s_xor_b32 s3, exec_lo, s2
	s_cbranch_execz .LBB14_11
; %bb.10:
	s_cvt_f32_u32 s2, s16
	s_cvt_f32_u32 s26, s17
	s_sub_nc_u64 s[28:29], 0, s[16:17]
	s_mov_b32 s35, 0
	v_dual_mov_b32 v2, v4 :: v_dual_mov_b32 v3, v6
	s_fmamk_f32 s2, s26, 0x4f800000, s2
	v_dual_mov_b32 v8, v5 :: v_dual_mov_b32 v9, v6
	v_dual_mov_b32 v13, v6 :: v_dual_mov_b32 v7, v6
	s_delay_alu instid0(SALU_CYCLE_1) | instskip(NEXT) | instid1(TRANS32_DEP_1)
	v_s_rcp_f32 s2, s2
	s_mul_f32 s2, s2, 0x5f7ffffc
	s_delay_alu instid0(SALU_CYCLE_3) | instskip(NEXT) | instid1(SALU_CYCLE_3)
	s_mul_f32 s26, s2, 0x2f800000
	s_trunc_f32 s26, s26
	s_delay_alu instid0(SALU_CYCLE_3) | instskip(SKIP_1) | instid1(SALU_CYCLE_2)
	s_fmamk_f32 s2, s26, 0xcf800000, s2
	s_cvt_u32_f32 s27, s26
	s_cvt_u32_f32 s26, s2
	s_delay_alu instid0(SALU_CYCLE_3) | instskip(NEXT) | instid1(SALU_CYCLE_1)
	s_mul_u64 s[30:31], s[28:29], s[26:27]
	s_mul_hi_u32 s37, s26, s31
	s_mul_i32 s36, s26, s31
	s_mul_hi_u32 s34, s26, s30
	s_mul_i32 s33, s27, s30
	s_add_nc_u64 s[36:37], s[34:35], s[36:37]
	s_mul_hi_u32 s2, s27, s30
	s_mul_hi_u32 s38, s27, s31
	s_mul_i32 s30, s27, s31
	s_add_co_u32 s31, s36, s33
	s_add_co_ci_u32 s34, s37, s2
	s_add_co_ci_u32 s31, s38, 0
	s_delay_alu instid0(SALU_CYCLE_1) | instskip(NEXT) | instid1(SALU_CYCLE_1)
	s_add_nc_u64 s[30:31], s[34:35], s[30:31]
	s_add_co_u32 s26, s26, s30
	s_cselect_b32 s2, -1, 0
	s_delay_alu instid0(SALU_CYCLE_1) | instskip(SKIP_1) | instid1(SALU_CYCLE_1)
	s_cmp_lg_u32 s2, 0
	s_add_co_ci_u32 s27, s27, s31
	s_mul_u64 s[28:29], s[28:29], s[26:27]
	s_delay_alu instid0(SALU_CYCLE_1)
	s_mul_hi_u32 s31, s26, s29
	s_mul_i32 s30, s26, s29
	s_mul_hi_u32 s34, s26, s28
	s_mul_i32 s33, s27, s28
	s_add_nc_u64 s[30:31], s[34:35], s[30:31]
	s_mul_hi_u32 s2, s27, s28
	s_mul_hi_u32 s36, s27, s29
	s_mul_i32 s28, s27, s29
	s_add_co_u32 s29, s30, s33
	s_add_co_ci_u32 s34, s31, s2
	s_add_co_ci_u32 s29, s36, 0
	s_delay_alu instid0(SALU_CYCLE_1) | instskip(NEXT) | instid1(SALU_CYCLE_1)
	s_add_nc_u64 s[28:29], s[34:35], s[28:29]
	s_add_co_u32 s2, s26, s28
	s_cselect_b32 s26, -1, 0
	v_nop
	v_mul_hi_u32 v12, v4, s2
	s_cmp_lg_u32 s26, 0
	s_add_co_ci_u32 s34, s27, s29
	s_mov_b64 s[26:27], 0xffffffff
	v_mul_u64_e32 v[2:3], s[34:35], v[2:3]
	s_and_b64 s[26:27], s[2:3], s[26:27]
	s_delay_alu instid0(SALU_CYCLE_1) | instskip(SKIP_1) | instid1(VALU_DEP_3)
	v_mul_u64_e32 v[10:11], s[26:27], v[8:9]
	v_mul_u64_e32 v[8:9], s[34:35], v[8:9]
	v_add_nc_u64_e32 v[2:3], v[12:13], v[2:3]
	s_delay_alu instid0(VALU_DEP_1) | instskip(NEXT) | instid1(VALU_DEP_2)
	v_add_co_u32 v2, vcc_lo, v2, v10
	v_add_co_ci_u32_e32 v6, vcc_lo, v3, v11, vcc_lo
	s_delay_alu instid0(VALU_DEP_4) | instskip(NEXT) | instid1(VALU_DEP_1)
	v_add_co_ci_u32_e32 v9, vcc_lo, 0, v9, vcc_lo
	v_add_nc_u64_e32 v[2:3], v[6:7], v[8:9]
	s_delay_alu instid0(VALU_DEP_1) | instskip(NEXT) | instid1(VALU_DEP_1)
	v_mul_u64_e32 v[2:3], s[16:17], v[2:3]
	v_sub_nc_u32_e32 v6, v5, v3
	s_delay_alu instid0(VALU_DEP_2) | instskip(NEXT) | instid1(VALU_DEP_1)
	v_sub_co_u32 v2, vcc_lo, v4, v2
	v_sub_co_ci_u32_e64 v3, null, v5, v3, vcc_lo
	s_delay_alu instid0(VALU_DEP_3) | instskip(NEXT) | instid1(VALU_DEP_3)
	v_subrev_co_ci_u32_e64 v4, null, s17, v6, vcc_lo
	v_sub_co_u32 v5, vcc_lo, v2, s16
	v_cmp_le_u32_e64 s2, s16, v2
	s_delay_alu instid0(VALU_DEP_3) | instskip(SKIP_1) | instid1(VALU_DEP_3)
	v_subrev_co_ci_u32_e64 v6, null, 0, v4, vcc_lo
	v_subrev_co_ci_u32_e64 v4, null, s17, v4, vcc_lo
	v_cndmask_b32_e64 v7, 0, -1, s2
	v_cmp_le_u32_e64 s2, s16, v5
	v_cmp_le_u32_e32 vcc_lo, s17, v3
	s_delay_alu instid0(VALU_DEP_2) | instskip(SKIP_3) | instid1(VALU_DEP_3)
	v_cndmask_b32_e64 v8, 0, -1, s2
	v_cmp_le_u32_e64 s2, s17, v6
	v_cndmask_b32_e64 v10, 0, -1, vcc_lo
	v_cmp_eq_u32_e32 vcc_lo, s17, v6
	v_cndmask_b32_e64 v9, 0, -1, s2
	s_delay_alu instid0(VALU_DEP_1) | instskip(SKIP_1) | instid1(VALU_DEP_1)
	v_cndmask_b32_e32 v6, v9, v8, vcc_lo
	v_sub_co_u32 v8, vcc_lo, v5, s16
	v_subrev_co_ci_u32_e64 v4, null, 0, v4, vcc_lo
	v_cmp_eq_u32_e32 vcc_lo, s17, v3
	v_cndmask_b32_e32 v3, v10, v7, vcc_lo
	v_cmp_ne_u32_e32 vcc_lo, 0, v6
	v_cndmask_b32_e32 v4, v5, v8, vcc_lo
	s_delay_alu instid0(VALU_DEP_3) | instskip(NEXT) | instid1(VALU_DEP_2)
	v_cmp_ne_u32_e32 vcc_lo, 0, v3
	v_cndmask_b32_e32 v2, v2, v4, vcc_lo
                                        ; implicit-def: $vgpr4_vgpr5
.LBB14_11:
	s_and_not1_saveexec_b32 s2, s3
	s_cbranch_execz .LBB14_13
; %bb.12:
	v_cvt_f32_u32_e32 v2, s16
	s_sub_co_i32 s3, 0, s16
	s_delay_alu instid0(VALU_DEP_1) | instskip(SKIP_1) | instid1(TRANS32_DEP_1)
	v_rcp_iflag_f32_e32 v2, v2
	v_nop
	v_mul_f32_e32 v2, 0x4f7ffffe, v2
	s_delay_alu instid0(VALU_DEP_1) | instskip(NEXT) | instid1(VALU_DEP_1)
	v_cvt_u32_f32_e32 v2, v2
	v_mul_lo_u32 v3, s3, v2
	s_delay_alu instid0(VALU_DEP_1) | instskip(NEXT) | instid1(VALU_DEP_1)
	v_mul_hi_u32 v3, v2, v3
	v_add_nc_u32_e32 v2, v2, v3
	s_delay_alu instid0(VALU_DEP_1) | instskip(NEXT) | instid1(VALU_DEP_1)
	v_mul_hi_u32 v2, v4, v2
	v_mul_lo_u32 v2, v2, s16
	s_delay_alu instid0(VALU_DEP_1) | instskip(NEXT) | instid1(VALU_DEP_1)
	v_sub_nc_u32_e32 v2, v4, v2
	v_subrev_nc_u32_e32 v3, s16, v2
	v_cmp_le_u32_e32 vcc_lo, s16, v2
	s_delay_alu instid0(VALU_DEP_2) | instskip(NEXT) | instid1(VALU_DEP_1)
	v_cndmask_b32_e32 v2, v2, v3, vcc_lo
	v_subrev_nc_u32_e32 v3, s16, v2
	v_cmp_le_u32_e32 vcc_lo, s16, v2
	s_delay_alu instid0(VALU_DEP_2)
	v_cndmask_b32_e32 v2, v2, v3, vcc_lo
.LBB14_13:
	s_or_b32 exec_lo, exec_lo, s2
	v_dual_mov_b32 v6, 0 :: v_dual_bitop2_b32 v7, s21, v1 bitop3:0x54
                                        ; implicit-def: $vgpr4_vgpr5
	s_mov_b32 s2, exec_lo
	s_delay_alu instid0(VALU_DEP_1)
	v_cmpx_ne_u64_e32 0, v[6:7]
	s_xor_b32 s3, exec_lo, s2
	s_cbranch_execz .LBB14_15
; %bb.14:
	s_cvt_f32_u32 s2, s20
	s_cvt_f32_u32 s16, s21
	s_sub_nc_u64 s[26:27], 0, s[20:21]
	s_mov_b32 s31, 0
	v_dual_mov_b32 v4, v0 :: v_dual_mov_b32 v5, v6
	s_fmamk_f32 s2, s16, 0x4f800000, s2
	v_dual_mov_b32 v8, v1 :: v_dual_mov_b32 v9, v6
	v_dual_mov_b32 v13, v6 :: v_dual_mov_b32 v7, v6
	s_delay_alu instid0(SALU_CYCLE_1) | instskip(NEXT) | instid1(TRANS32_DEP_1)
	v_s_rcp_f32 s2, s2
	s_mul_f32 s2, s2, 0x5f7ffffc
	s_delay_alu instid0(SALU_CYCLE_3) | instskip(NEXT) | instid1(SALU_CYCLE_3)
	s_mul_f32 s16, s2, 0x2f800000
	s_trunc_f32 s16, s16
	s_delay_alu instid0(SALU_CYCLE_3) | instskip(SKIP_1) | instid1(SALU_CYCLE_2)
	s_fmamk_f32 s2, s16, 0xcf800000, s2
	s_cvt_u32_f32 s17, s16
	s_cvt_u32_f32 s16, s2
	s_delay_alu instid0(SALU_CYCLE_3) | instskip(NEXT) | instid1(SALU_CYCLE_1)
	s_mul_u64 s[28:29], s[26:27], s[16:17]
	s_mul_hi_u32 s35, s16, s29
	s_mul_i32 s34, s16, s29
	s_mul_hi_u32 s30, s16, s28
	s_mul_i32 s33, s17, s28
	s_add_nc_u64 s[34:35], s[30:31], s[34:35]
	s_mul_hi_u32 s2, s17, s28
	s_mul_hi_u32 s36, s17, s29
	s_mul_i32 s28, s17, s29
	s_add_co_u32 s29, s34, s33
	s_add_co_ci_u32 s30, s35, s2
	s_add_co_ci_u32 s29, s36, 0
	s_delay_alu instid0(SALU_CYCLE_1) | instskip(NEXT) | instid1(SALU_CYCLE_1)
	s_add_nc_u64 s[28:29], s[30:31], s[28:29]
	s_add_co_u32 s16, s16, s28
	s_cselect_b32 s2, -1, 0
	s_delay_alu instid0(SALU_CYCLE_1) | instskip(SKIP_1) | instid1(SALU_CYCLE_1)
	s_cmp_lg_u32 s2, 0
	s_add_co_ci_u32 s17, s17, s29
	s_mul_u64 s[26:27], s[26:27], s[16:17]
	s_delay_alu instid0(SALU_CYCLE_1)
	s_mul_hi_u32 s29, s16, s27
	s_mul_i32 s28, s16, s27
	s_mul_hi_u32 s30, s16, s26
	s_mul_i32 s33, s17, s26
	s_add_nc_u64 s[28:29], s[30:31], s[28:29]
	s_mul_hi_u32 s2, s17, s26
	s_mul_hi_u32 s34, s17, s27
	s_mul_i32 s26, s17, s27
	s_add_co_u32 s27, s28, s33
	s_add_co_ci_u32 s30, s29, s2
	s_add_co_ci_u32 s27, s34, 0
	s_delay_alu instid0(SALU_CYCLE_1) | instskip(NEXT) | instid1(SALU_CYCLE_1)
	s_add_nc_u64 s[26:27], s[30:31], s[26:27]
	s_add_co_u32 s2, s16, s26
	s_cselect_b32 s16, -1, 0
	v_nop
	v_mul_hi_u32 v12, v0, s2
	s_cmp_lg_u32 s16, 0
	s_add_co_ci_u32 s30, s17, s27
	s_mov_b64 s[16:17], 0xffffffff
	v_mul_u64_e32 v[4:5], s[30:31], v[4:5]
	s_and_b64 s[16:17], s[2:3], s[16:17]
	s_delay_alu instid0(SALU_CYCLE_1) | instskip(SKIP_1) | instid1(VALU_DEP_3)
	v_mul_u64_e32 v[10:11], s[16:17], v[8:9]
	v_mul_u64_e32 v[8:9], s[30:31], v[8:9]
	v_add_nc_u64_e32 v[4:5], v[12:13], v[4:5]
	s_delay_alu instid0(VALU_DEP_1) | instskip(NEXT) | instid1(VALU_DEP_2)
	v_add_co_u32 v3, vcc_lo, v4, v10
	v_add_co_ci_u32_e32 v6, vcc_lo, v5, v11, vcc_lo
	s_delay_alu instid0(VALU_DEP_4) | instskip(NEXT) | instid1(VALU_DEP_1)
	v_add_co_ci_u32_e32 v9, vcc_lo, 0, v9, vcc_lo
	v_add_nc_u64_e32 v[4:5], v[6:7], v[8:9]
	s_delay_alu instid0(VALU_DEP_1) | instskip(SKIP_1) | instid1(VALU_DEP_2)
	v_mul_u64_e32 v[6:7], s[20:21], v[4:5]
	v_add_nc_u64_e32 v[8:9], 2, v[4:5]
	v_sub_nc_u32_e32 v3, v1, v7
	s_delay_alu instid0(VALU_DEP_3) | instskip(NEXT) | instid1(VALU_DEP_1)
	v_sub_co_u32 v6, vcc_lo, v0, v6
	v_sub_co_ci_u32_e64 v12, null, v1, v7, vcc_lo
	s_delay_alu instid0(VALU_DEP_3) | instskip(NEXT) | instid1(VALU_DEP_3)
	v_subrev_co_ci_u32_e64 v3, null, s21, v3, vcc_lo
	v_sub_co_u32 v10, s2, v6, s20
	v_cmp_le_u32_e32 vcc_lo, s20, v6
	s_delay_alu instid0(VALU_DEP_3) | instskip(NEXT) | instid1(VALU_DEP_3)
	v_subrev_co_ci_u32_e64 v3, null, 0, v3, s2
	v_cmp_le_u32_e64 s2, s20, v10
	v_add_nc_u64_e32 v[6:7], 1, v[4:5]
	v_cndmask_b32_e64 v13, 0, -1, vcc_lo
	s_delay_alu instid0(VALU_DEP_4) | instskip(NEXT) | instid1(VALU_DEP_4)
	v_cmp_eq_u32_e32 vcc_lo, s21, v3
	v_cndmask_b32_e64 v10, 0, -1, s2
	v_cmp_le_u32_e64 s2, s21, v3
	s_delay_alu instid0(VALU_DEP_1) | instskip(SKIP_1) | instid1(VALU_DEP_2)
	v_cndmask_b32_e64 v11, 0, -1, s2
	v_cmp_eq_u32_e64 s2, s21, v12
	v_cndmask_b32_e32 v3, v11, v10, vcc_lo
	v_cmp_le_u32_e32 vcc_lo, s21, v12
	v_cndmask_b32_e64 v10, 0, -1, vcc_lo
	s_delay_alu instid0(VALU_DEP_3) | instskip(SKIP_1) | instid1(VALU_DEP_3)
	v_cmp_ne_u32_e32 vcc_lo, 0, v3
	v_cndmask_b32_e32 v7, v7, v9, vcc_lo
	v_cndmask_b32_e64 v3, v10, v13, s2
	v_cndmask_b32_e32 v6, v6, v8, vcc_lo
	s_delay_alu instid0(VALU_DEP_2) | instskip(NEXT) | instid1(VALU_DEP_2)
	v_cmp_ne_u32_e32 vcc_lo, 0, v3
	v_dual_cndmask_b32 v5, v5, v7 :: v_dual_cndmask_b32 v4, v4, v6
.LBB14_15:
	s_and_not1_saveexec_b32 s2, s3
	s_cbranch_execz .LBB14_17
; %bb.16:
	v_cvt_f32_u32_e32 v3, s20
	s_sub_co_i32 s3, 0, s20
	s_delay_alu instid0(VALU_DEP_1) | instskip(SKIP_1) | instid1(TRANS32_DEP_1)
	v_rcp_iflag_f32_e32 v3, v3
	v_nop
	v_mul_f32_e32 v3, 0x4f7ffffe, v3
	s_delay_alu instid0(VALU_DEP_1) | instskip(NEXT) | instid1(VALU_DEP_1)
	v_cvt_u32_f32_e32 v3, v3
	v_mul_lo_u32 v4, s3, v3
	s_delay_alu instid0(VALU_DEP_1) | instskip(NEXT) | instid1(VALU_DEP_1)
	v_mul_hi_u32 v4, v3, v4
	v_add_nc_u32_e32 v3, v3, v4
	s_delay_alu instid0(VALU_DEP_1) | instskip(NEXT) | instid1(VALU_DEP_1)
	v_mul_hi_u32 v3, v0, v3
	v_mul_lo_u32 v4, v3, s20
	s_delay_alu instid0(VALU_DEP_1) | instskip(NEXT) | instid1(VALU_DEP_1)
	v_dual_add_nc_u32 v5, 1, v3 :: v_dual_sub_nc_u32 v4, v0, v4
	v_subrev_nc_u32_e32 v6, s20, v4
	v_cmp_le_u32_e32 vcc_lo, s20, v4
	s_delay_alu instid0(VALU_DEP_2) | instskip(NEXT) | instid1(VALU_DEP_1)
	v_dual_cndmask_b32 v4, v4, v6 :: v_dual_cndmask_b32 v3, v3, v5
	v_cmp_le_u32_e32 vcc_lo, s20, v4
	s_delay_alu instid0(VALU_DEP_2) | instskip(NEXT) | instid1(VALU_DEP_1)
	v_add_nc_u32_e32 v5, 1, v3
	v_dual_cndmask_b32 v4, v3, v5 :: v_dual_mov_b32 v5, 0
.LBB14_17:
	s_or_b32 exec_lo, exec_lo, s2
	s_delay_alu instid0(VALU_DEP_1) | instskip(SKIP_1) | instid1(VALU_DEP_1)
	v_dual_mov_b32 v8, 0 :: v_dual_bitop2_b32 v9, s19, v5 bitop3:0x54
                                        ; implicit-def: $vgpr6_vgpr7
	s_mov_b32 s2, exec_lo
	v_cmpx_ne_u64_e32 0, v[8:9]
	s_xor_b32 s3, exec_lo, s2
	s_cbranch_execnz .LBB14_20
; %bb.18:
	s_and_not1_saveexec_b32 s2, s3
	s_cbranch_execnz .LBB14_21
.LBB14_19:
	s_or_b32 exec_lo, exec_lo, s2
	s_cmp_eq_u64 s[6:7], 0
	s_cbranch_scc0 .LBB14_22
	s_branch .LBB14_44
.LBB14_20:
	s_cvt_f32_u32 s2, s18
	s_cvt_f32_u32 s16, s19
	s_sub_nc_u64 s[26:27], 0, s[18:19]
	s_mov_b32 s31, 0
	v_dual_mov_b32 v6, v4 :: v_dual_mov_b32 v7, v8
	s_fmamk_f32 s2, s16, 0x4f800000, s2
	v_dual_mov_b32 v10, v5 :: v_dual_mov_b32 v11, v8
	v_dual_mov_b32 v15, v8 :: v_dual_mov_b32 v9, v8
	s_delay_alu instid0(SALU_CYCLE_1) | instskip(NEXT) | instid1(TRANS32_DEP_1)
	v_s_rcp_f32 s2, s2
	s_mul_f32 s2, s2, 0x5f7ffffc
	s_delay_alu instid0(SALU_CYCLE_3) | instskip(NEXT) | instid1(SALU_CYCLE_3)
	s_mul_f32 s16, s2, 0x2f800000
	s_trunc_f32 s16, s16
	s_delay_alu instid0(SALU_CYCLE_3) | instskip(SKIP_1) | instid1(SALU_CYCLE_2)
	s_fmamk_f32 s2, s16, 0xcf800000, s2
	s_cvt_u32_f32 s17, s16
	s_cvt_u32_f32 s16, s2
	s_delay_alu instid0(SALU_CYCLE_3) | instskip(NEXT) | instid1(SALU_CYCLE_1)
	s_mul_u64 s[28:29], s[26:27], s[16:17]
	s_mul_hi_u32 s35, s16, s29
	s_mul_i32 s34, s16, s29
	s_mul_hi_u32 s30, s16, s28
	s_mul_i32 s33, s17, s28
	s_add_nc_u64 s[34:35], s[30:31], s[34:35]
	s_mul_hi_u32 s2, s17, s28
	s_mul_hi_u32 s36, s17, s29
	s_mul_i32 s28, s17, s29
	s_add_co_u32 s29, s34, s33
	s_add_co_ci_u32 s30, s35, s2
	s_add_co_ci_u32 s29, s36, 0
	s_delay_alu instid0(SALU_CYCLE_1) | instskip(NEXT) | instid1(SALU_CYCLE_1)
	s_add_nc_u64 s[28:29], s[30:31], s[28:29]
	s_add_co_u32 s16, s16, s28
	s_cselect_b32 s2, -1, 0
	s_delay_alu instid0(SALU_CYCLE_1) | instskip(SKIP_1) | instid1(SALU_CYCLE_1)
	s_cmp_lg_u32 s2, 0
	s_add_co_ci_u32 s17, s17, s29
	s_mul_u64 s[26:27], s[26:27], s[16:17]
	s_delay_alu instid0(SALU_CYCLE_1)
	s_mul_hi_u32 s29, s16, s27
	s_mul_i32 s28, s16, s27
	s_mul_hi_u32 s30, s16, s26
	s_mul_i32 s33, s17, s26
	s_add_nc_u64 s[28:29], s[30:31], s[28:29]
	s_mul_hi_u32 s2, s17, s26
	s_mul_hi_u32 s34, s17, s27
	s_mul_i32 s26, s17, s27
	s_add_co_u32 s27, s28, s33
	s_add_co_ci_u32 s30, s29, s2
	s_add_co_ci_u32 s27, s34, 0
	s_delay_alu instid0(SALU_CYCLE_1) | instskip(NEXT) | instid1(SALU_CYCLE_1)
	s_add_nc_u64 s[26:27], s[30:31], s[26:27]
	s_add_co_u32 s2, s16, s26
	s_cselect_b32 s16, -1, 0
	v_nop
	v_mul_hi_u32 v14, v4, s2
	s_cmp_lg_u32 s16, 0
	s_add_co_ci_u32 s30, s17, s27
	s_mov_b64 s[16:17], 0xffffffff
	v_mul_u64_e32 v[6:7], s[30:31], v[6:7]
	s_and_b64 s[16:17], s[2:3], s[16:17]
	s_delay_alu instid0(SALU_CYCLE_1) | instskip(SKIP_1) | instid1(VALU_DEP_3)
	v_mul_u64_e32 v[12:13], s[16:17], v[10:11]
	v_mul_u64_e32 v[10:11], s[30:31], v[10:11]
	v_add_nc_u64_e32 v[6:7], v[14:15], v[6:7]
	s_delay_alu instid0(VALU_DEP_1) | instskip(NEXT) | instid1(VALU_DEP_2)
	v_add_co_u32 v3, vcc_lo, v6, v12
	v_add_co_ci_u32_e32 v8, vcc_lo, v7, v13, vcc_lo
	s_delay_alu instid0(VALU_DEP_4) | instskip(NEXT) | instid1(VALU_DEP_1)
	v_add_co_ci_u32_e32 v11, vcc_lo, 0, v11, vcc_lo
	v_add_nc_u64_e32 v[6:7], v[8:9], v[10:11]
	s_delay_alu instid0(VALU_DEP_1) | instskip(NEXT) | instid1(VALU_DEP_1)
	v_mul_u64_e32 v[6:7], s[18:19], v[6:7]
	v_sub_nc_u32_e32 v3, v5, v7
	s_delay_alu instid0(VALU_DEP_2) | instskip(NEXT) | instid1(VALU_DEP_1)
	v_sub_co_u32 v6, vcc_lo, v4, v6
	v_sub_co_ci_u32_e64 v5, null, v5, v7, vcc_lo
	s_delay_alu instid0(VALU_DEP_3) | instskip(NEXT) | instid1(VALU_DEP_3)
	v_subrev_co_ci_u32_e64 v3, null, s19, v3, vcc_lo
	v_sub_co_u32 v7, vcc_lo, v6, s18
	v_cmp_le_u32_e64 s2, s18, v6
	s_delay_alu instid0(VALU_DEP_3) | instskip(SKIP_1) | instid1(VALU_DEP_3)
	v_subrev_co_ci_u32_e64 v8, null, 0, v3, vcc_lo
	v_subrev_co_ci_u32_e64 v3, null, s19, v3, vcc_lo
	v_cndmask_b32_e64 v9, 0, -1, s2
	v_cmp_le_u32_e64 s2, s18, v7
	v_cmp_le_u32_e32 vcc_lo, s19, v5
	s_delay_alu instid0(VALU_DEP_2) | instskip(SKIP_3) | instid1(VALU_DEP_3)
	v_cndmask_b32_e64 v10, 0, -1, s2
	v_cmp_le_u32_e64 s2, s19, v8
	v_cndmask_b32_e64 v12, 0, -1, vcc_lo
	v_cmp_eq_u32_e32 vcc_lo, s19, v8
	v_cndmask_b32_e64 v11, 0, -1, s2
	s_delay_alu instid0(VALU_DEP_1) | instskip(SKIP_1) | instid1(VALU_DEP_1)
	v_cndmask_b32_e32 v8, v11, v10, vcc_lo
	v_sub_co_u32 v10, vcc_lo, v7, s18
	v_subrev_co_ci_u32_e64 v3, null, 0, v3, vcc_lo
	v_cmp_eq_u32_e32 vcc_lo, s19, v5
	v_cndmask_b32_e32 v3, v12, v9, vcc_lo
	v_cmp_ne_u32_e32 vcc_lo, 0, v8
	v_cndmask_b32_e32 v5, v7, v10, vcc_lo
	s_delay_alu instid0(VALU_DEP_3) | instskip(NEXT) | instid1(VALU_DEP_2)
	v_cmp_ne_u32_e32 vcc_lo, 0, v3
	v_cndmask_b32_e32 v6, v6, v5, vcc_lo
	s_and_not1_saveexec_b32 s2, s3
	s_cbranch_execz .LBB14_19
.LBB14_21:
	v_cvt_f32_u32_e32 v3, s18
	s_sub_co_i32 s3, 0, s18
	s_delay_alu instid0(VALU_DEP_1) | instskip(SKIP_1) | instid1(TRANS32_DEP_1)
	v_rcp_iflag_f32_e32 v3, v3
	v_nop
	v_mul_f32_e32 v3, 0x4f7ffffe, v3
	s_delay_alu instid0(VALU_DEP_1) | instskip(NEXT) | instid1(VALU_DEP_1)
	v_cvt_u32_f32_e32 v3, v3
	v_mul_lo_u32 v5, s3, v3
	s_delay_alu instid0(VALU_DEP_1) | instskip(NEXT) | instid1(VALU_DEP_1)
	v_mul_hi_u32 v5, v3, v5
	v_add_nc_u32_e32 v3, v3, v5
	s_delay_alu instid0(VALU_DEP_1) | instskip(NEXT) | instid1(VALU_DEP_1)
	v_mul_hi_u32 v3, v4, v3
	v_mul_lo_u32 v3, v3, s18
	s_delay_alu instid0(VALU_DEP_1) | instskip(NEXT) | instid1(VALU_DEP_1)
	v_sub_nc_u32_e32 v3, v4, v3
	v_subrev_nc_u32_e32 v5, s18, v3
	v_cmp_le_u32_e32 vcc_lo, s18, v3
	s_delay_alu instid0(VALU_DEP_2) | instskip(NEXT) | instid1(VALU_DEP_1)
	v_cndmask_b32_e32 v3, v3, v5, vcc_lo
	v_subrev_nc_u32_e32 v5, s18, v3
	v_cmp_le_u32_e32 vcc_lo, s18, v3
	s_delay_alu instid0(VALU_DEP_2)
	v_cndmask_b32_e32 v6, v3, v5, vcc_lo
	s_or_b32 exec_lo, exec_lo, s2
	s_cmp_eq_u64 s[6:7], 0
	s_cbranch_scc1 .LBB14_44
.LBB14_22:
	s_mul_u64 s[16:17], s[24:25], s[20:21]
                                        ; implicit-def: $vgpr10_vgpr11
	s_mov_b32 s2, exec_lo
	v_dual_mov_b32 v8, 0 :: v_dual_bitop2_b32 v9, s17, v1 bitop3:0x54
	s_delay_alu instid0(VALU_DEP_1)
	v_cmpx_ne_u64_e32 0, v[8:9]
	s_xor_b32 s3, exec_lo, s2
	s_cbranch_execz .LBB14_24
; %bb.23:
	s_ashr_i32 s18, s17, 31
	s_mov_b32 s35, 0
	s_mov_b32 s19, s18
	v_dual_mov_b32 v15, v8 :: v_dual_ashrrev_i32 v10, 31, v1
	s_add_nc_u64 s[24:25], s[16:17], s[18:19]
	v_dual_mov_b32 v23, v8 :: v_dual_mov_b32 v9, v8
	s_xor_b64 s[24:25], s[24:25], s[18:19]
	s_delay_alu instid0(VALU_DEP_2) | instskip(SKIP_3) | instid1(VALU_DEP_1)
	v_mov_b32_e32 v11, v10
	s_cvt_f32_u32 s2, s24
	s_cvt_f32_u32 s19, s25
	s_sub_nc_u64 s[28:29], 0, s[24:25]
	v_add_nc_u64_e32 v[12:13], v[0:1], v[10:11]
	s_delay_alu instid0(SALU_CYCLE_1) | instskip(SKIP_1) | instid1(SALU_CYCLE_2)
	s_fmamk_f32 s2, s19, 0x4f800000, s2
	v_mov_b32_e32 v17, v8
	v_s_rcp_f32 s2, s2
	s_delay_alu instid0(VALU_DEP_2) | instskip(NEXT) | instid1(VALU_DEP_3)
	v_xor_b32_e32 v14, v12, v10
	v_xor_b32_e32 v16, v13, v10
	;; [unrolled: 1-line block ×3, first 2 shown]
	s_delay_alu instid0(TRANS32_DEP_1) | instskip(NEXT) | instid1(SALU_CYCLE_3)
	s_mul_f32 s2, s2, 0x5f7ffffc
	s_mul_f32 s19, s2, 0x2f800000
	s_delay_alu instid0(SALU_CYCLE_3) | instskip(NEXT) | instid1(SALU_CYCLE_3)
	s_trunc_f32 s19, s19
	s_fmamk_f32 s2, s19, 0xcf800000, s2
	s_cvt_u32_f32 s27, s19
	s_delay_alu instid0(SALU_CYCLE_2) | instskip(NEXT) | instid1(SALU_CYCLE_3)
	s_cvt_u32_f32 s26, s2
	s_mul_u64 s[30:31], s[28:29], s[26:27]
	s_delay_alu instid0(SALU_CYCLE_1)
	s_mul_hi_u32 s37, s26, s31
	s_mul_i32 s36, s26, s31
	s_mul_hi_u32 s34, s26, s30
	s_mul_i32 s19, s27, s30
	s_add_nc_u64 s[36:37], s[34:35], s[36:37]
	s_mul_hi_u32 s2, s27, s30
	s_mul_hi_u32 s21, s27, s31
	s_add_co_u32 s19, s36, s19
	s_add_co_ci_u32 s34, s37, s2
	s_mul_i32 s30, s27, s31
	s_add_co_ci_u32 s31, s21, 0
	s_delay_alu instid0(SALU_CYCLE_1) | instskip(NEXT) | instid1(SALU_CYCLE_1)
	s_add_nc_u64 s[30:31], s[34:35], s[30:31]
	s_add_co_u32 s26, s26, s30
	s_cselect_b32 s2, -1, 0
	s_delay_alu instid0(SALU_CYCLE_1) | instskip(SKIP_1) | instid1(SALU_CYCLE_1)
	s_cmp_lg_u32 s2, 0
	s_add_co_ci_u32 s27, s27, s31
	s_mul_u64 s[28:29], s[28:29], s[26:27]
	s_delay_alu instid0(SALU_CYCLE_1)
	s_mul_hi_u32 s31, s26, s29
	s_mul_i32 s30, s26, s29
	s_mul_hi_u32 s34, s26, s28
	s_mul_i32 s19, s27, s28
	s_add_nc_u64 s[30:31], s[34:35], s[30:31]
	s_mul_hi_u32 s2, s27, s28
	s_mul_hi_u32 s21, s27, s29
	s_add_co_u32 s19, s30, s19
	s_add_co_ci_u32 s34, s31, s2
	s_mul_i32 s28, s27, s29
	s_add_co_ci_u32 s29, s21, 0
	s_delay_alu instid0(SALU_CYCLE_1) | instskip(NEXT) | instid1(SALU_CYCLE_1)
	s_add_nc_u64 s[28:29], s[34:35], s[28:29]
	s_add_co_u32 s2, s26, s28
	s_cselect_b32 s19, -1, 0
	v_mul_hi_u32 v22, v14, s2
	s_cmp_lg_u32 s19, 0
	s_add_co_ci_u32 s34, s27, s29
	s_mov_b64 s[26:27], 0xffffffff
	v_mul_u64_e32 v[18:19], s[34:35], v[14:15]
	s_and_b64 s[26:27], s[2:3], s[26:27]
	v_mul_u64_e32 v[20:21], s[34:35], v[16:17]
	v_mul_u64_e32 v[12:13], s[26:27], v[16:17]
	s_delay_alu instid0(VALU_DEP_3) | instskip(NEXT) | instid1(VALU_DEP_1)
	v_add_nc_u64_e32 v[18:19], v[22:23], v[18:19]
	v_add_co_u32 v3, vcc_lo, v18, v12
	s_delay_alu instid0(VALU_DEP_2) | instskip(SKIP_1) | instid1(VALU_DEP_1)
	v_add_co_ci_u32_e32 v8, vcc_lo, v19, v13, vcc_lo
	v_add_co_ci_u32_e32 v21, vcc_lo, 0, v21, vcc_lo
	v_add_nc_u64_e32 v[8:9], v[8:9], v[20:21]
	s_delay_alu instid0(VALU_DEP_1) | instskip(NEXT) | instid1(VALU_DEP_1)
	v_mul_u64_e32 v[12:13], s[24:25], v[8:9]
	v_sub_co_u32 v5, vcc_lo, v14, v12
	v_add_nc_u64_e32 v[14:15], 1, v[8:9]
	s_delay_alu instid0(VALU_DEP_3) | instskip(SKIP_1) | instid1(VALU_DEP_4)
	v_sub_nc_u32_e32 v3, v16, v13
	v_sub_co_ci_u32_e64 v11, null, v16, v13, vcc_lo
	v_sub_co_u32 v7, s2, v5, s24
	s_delay_alu instid0(VALU_DEP_3) | instskip(NEXT) | instid1(VALU_DEP_2)
	v_subrev_co_ci_u32_e64 v3, null, s25, v3, vcc_lo
	v_cmp_le_u32_e32 vcc_lo, s24, v7
	s_delay_alu instid0(VALU_DEP_2) | instskip(SKIP_1) | instid1(VALU_DEP_2)
	v_subrev_co_ci_u32_e64 v3, null, 0, v3, s2
	v_cndmask_b32_e64 v7, 0, -1, vcc_lo
	v_cmp_le_u32_e32 vcc_lo, s25, v3
	v_cndmask_b32_e64 v12, 0, -1, vcc_lo
	v_cmp_le_u32_e32 vcc_lo, s24, v5
	;; [unrolled: 2-line block ×3, first 2 shown]
	v_cndmask_b32_e64 v16, 0, -1, vcc_lo
	v_cmp_eq_u32_e32 vcc_lo, s25, v3
	v_cndmask_b32_e32 v3, v12, v7, vcc_lo
	v_cmp_eq_u32_e32 vcc_lo, s25, v11
	v_add_nc_u64_e32 v[12:13], 2, v[8:9]
	v_dual_mov_b32 v11, v10 :: v_dual_cndmask_b32 v5, v16, v5, vcc_lo
	s_delay_alu instid0(VALU_DEP_4) | instskip(NEXT) | instid1(VALU_DEP_2)
	v_cmp_ne_u32_e32 vcc_lo, 0, v3
	v_cmp_ne_u32_e64 s2, 0, v5
	s_delay_alu instid0(VALU_DEP_4) | instskip(NEXT) | instid1(VALU_DEP_1)
	v_dual_cndmask_b32 v3, v15, v13, vcc_lo :: v_dual_cndmask_b32 v5, v14, v12, vcc_lo
	v_dual_cndmask_b32 v3, v9, v3, s2 :: v_dual_cndmask_b32 v5, v8, v5, s2
	s_delay_alu instid0(VALU_DEP_1) | instskip(NEXT) | instid1(VALU_DEP_2)
	v_xor_b32_e32 v9, v3, v10
	v_xor_b32_e32 v8, v5, v10
	s_delay_alu instid0(VALU_DEP_1)
	v_sub_nc_u64_e32 v[10:11], v[8:9], v[10:11]
.LBB14_24:
	s_and_not1_saveexec_b32 s2, s3
	s_cbranch_execz .LBB14_26
; %bb.25:
	v_cvt_f32_u32_e32 v3, s16
	s_sub_co_i32 s3, 0, s16
	v_mov_b32_e32 v11, 0
	s_delay_alu instid0(VALU_DEP_2) | instskip(SKIP_1) | instid1(TRANS32_DEP_1)
	v_rcp_iflag_f32_e32 v3, v3
	v_nop
	v_mul_f32_e32 v3, 0x4f7ffffe, v3
	s_delay_alu instid0(VALU_DEP_1) | instskip(NEXT) | instid1(VALU_DEP_1)
	v_cvt_u32_f32_e32 v3, v3
	v_mul_lo_u32 v5, s3, v3
	s_delay_alu instid0(VALU_DEP_1) | instskip(NEXT) | instid1(VALU_DEP_1)
	v_mul_hi_u32 v5, v3, v5
	v_add_nc_u32_e32 v3, v3, v5
	s_delay_alu instid0(VALU_DEP_1) | instskip(NEXT) | instid1(VALU_DEP_1)
	v_mul_hi_u32 v3, v0, v3
	v_mul_lo_u32 v5, v3, s16
	s_delay_alu instid0(VALU_DEP_1) | instskip(NEXT) | instid1(VALU_DEP_1)
	v_sub_nc_u32_e32 v5, v0, v5
	v_subrev_nc_u32_e32 v8, s16, v5
	v_cmp_le_u32_e32 vcc_lo, s16, v5
	s_delay_alu instid0(VALU_DEP_2) | instskip(NEXT) | instid1(VALU_DEP_1)
	v_dual_add_nc_u32 v7, 1, v3 :: v_dual_cndmask_b32 v5, v5, v8, vcc_lo
	v_cndmask_b32_e32 v3, v3, v7, vcc_lo
	s_delay_alu instid0(VALU_DEP_2) | instskip(NEXT) | instid1(VALU_DEP_2)
	v_cmp_le_u32_e32 vcc_lo, s16, v5
	v_add_nc_u32_e32 v7, 1, v3
	s_delay_alu instid0(VALU_DEP_1)
	v_cndmask_b32_e32 v10, v3, v7, vcc_lo
.LBB14_26:
	s_or_b32 exec_lo, exec_lo, s2
	s_delay_alu instid0(VALU_DEP_1) | instskip(SKIP_1) | instid1(VALU_DEP_1)
	v_dual_mov_b32 v12, 0 :: v_dual_bitop2_b32 v13, s9, v11 bitop3:0x54
                                        ; implicit-def: $vgpr8_vgpr9
	s_mov_b32 s2, exec_lo
	v_cmpx_ne_u64_e32 0, v[12:13]
	s_xor_b32 s3, exec_lo, s2
	s_cbranch_execz .LBB14_28
; %bb.27:
	s_cvt_f32_u32 s2, s8
	s_cvt_f32_u32 s18, s9
	s_sub_nc_u64 s[24:25], 0, s[8:9]
	s_mov_b32 s29, 0
	v_dual_mov_b32 v8, v10 :: v_dual_mov_b32 v9, v12
	s_fmamk_f32 s2, s18, 0x4f800000, s2
	v_dual_mov_b32 v14, v11 :: v_dual_mov_b32 v15, v12
	v_dual_mov_b32 v19, v12 :: v_dual_mov_b32 v13, v12
	s_delay_alu instid0(SALU_CYCLE_1) | instskip(NEXT) | instid1(TRANS32_DEP_1)
	v_s_rcp_f32 s2, s2
	s_mul_f32 s2, s2, 0x5f7ffffc
	s_delay_alu instid0(SALU_CYCLE_3) | instskip(NEXT) | instid1(SALU_CYCLE_3)
	s_mul_f32 s18, s2, 0x2f800000
	s_trunc_f32 s18, s18
	s_delay_alu instid0(SALU_CYCLE_3) | instskip(SKIP_1) | instid1(SALU_CYCLE_2)
	s_fmamk_f32 s2, s18, 0xcf800000, s2
	s_cvt_u32_f32 s19, s18
	s_cvt_u32_f32 s18, s2
	s_delay_alu instid0(SALU_CYCLE_3) | instskip(NEXT) | instid1(SALU_CYCLE_1)
	s_mul_u64 s[26:27], s[24:25], s[18:19]
	s_mul_hi_u32 s31, s18, s27
	s_mul_i32 s30, s18, s27
	s_mul_hi_u32 s28, s18, s26
	s_mul_i32 s21, s19, s26
	s_add_nc_u64 s[30:31], s[28:29], s[30:31]
	s_mul_hi_u32 s2, s19, s26
	s_mul_hi_u32 s33, s19, s27
	s_add_co_u32 s21, s30, s21
	s_add_co_ci_u32 s28, s31, s2
	s_mul_i32 s26, s19, s27
	s_add_co_ci_u32 s27, s33, 0
	s_delay_alu instid0(SALU_CYCLE_1) | instskip(NEXT) | instid1(SALU_CYCLE_1)
	s_add_nc_u64 s[26:27], s[28:29], s[26:27]
	s_add_co_u32 s18, s18, s26
	s_cselect_b32 s2, -1, 0
	s_delay_alu instid0(SALU_CYCLE_1) | instskip(SKIP_1) | instid1(SALU_CYCLE_1)
	s_cmp_lg_u32 s2, 0
	s_add_co_ci_u32 s19, s19, s27
	s_mul_u64 s[24:25], s[24:25], s[18:19]
	s_delay_alu instid0(SALU_CYCLE_1)
	s_mul_hi_u32 s27, s18, s25
	s_mul_i32 s26, s18, s25
	s_mul_hi_u32 s28, s18, s24
	s_mul_i32 s21, s19, s24
	s_add_nc_u64 s[26:27], s[28:29], s[26:27]
	s_mul_hi_u32 s2, s19, s24
	s_mul_hi_u32 s30, s19, s25
	s_add_co_u32 s21, s26, s21
	s_add_co_ci_u32 s28, s27, s2
	s_mul_i32 s24, s19, s25
	s_add_co_ci_u32 s25, s30, 0
	s_delay_alu instid0(SALU_CYCLE_1) | instskip(NEXT) | instid1(SALU_CYCLE_1)
	s_add_nc_u64 s[24:25], s[28:29], s[24:25]
	s_add_co_u32 s2, s18, s24
	s_cselect_b32 s18, -1, 0
	v_nop
	v_mul_hi_u32 v18, v10, s2
	s_cmp_lg_u32 s18, 0
	s_add_co_ci_u32 s28, s19, s25
	s_mov_b64 s[18:19], 0xffffffff
	v_mul_u64_e32 v[8:9], s[28:29], v[8:9]
	s_and_b64 s[18:19], s[2:3], s[18:19]
	s_delay_alu instid0(SALU_CYCLE_1) | instskip(SKIP_1) | instid1(VALU_DEP_3)
	v_mul_u64_e32 v[16:17], s[18:19], v[14:15]
	v_mul_u64_e32 v[14:15], s[28:29], v[14:15]
	v_add_nc_u64_e32 v[8:9], v[18:19], v[8:9]
	s_delay_alu instid0(VALU_DEP_1) | instskip(NEXT) | instid1(VALU_DEP_2)
	v_add_co_u32 v3, vcc_lo, v8, v16
	v_add_co_ci_u32_e32 v12, vcc_lo, v9, v17, vcc_lo
	s_delay_alu instid0(VALU_DEP_4) | instskip(NEXT) | instid1(VALU_DEP_1)
	v_add_co_ci_u32_e32 v15, vcc_lo, 0, v15, vcc_lo
	v_add_nc_u64_e32 v[8:9], v[12:13], v[14:15]
	s_delay_alu instid0(VALU_DEP_1) | instskip(NEXT) | instid1(VALU_DEP_1)
	v_mul_u64_e32 v[8:9], s[8:9], v[8:9]
	v_sub_nc_u32_e32 v3, v11, v9
	s_delay_alu instid0(VALU_DEP_2) | instskip(NEXT) | instid1(VALU_DEP_1)
	v_sub_co_u32 v5, vcc_lo, v10, v8
	v_sub_co_ci_u32_e64 v7, null, v11, v9, vcc_lo
	s_delay_alu instid0(VALU_DEP_3) | instskip(NEXT) | instid1(VALU_DEP_3)
	v_subrev_co_ci_u32_e64 v3, null, s9, v3, vcc_lo
	v_sub_co_u32 v8, vcc_lo, v5, s8
	v_cmp_le_u32_e64 s2, s8, v5
	s_delay_alu instid0(VALU_DEP_3) | instskip(SKIP_1) | instid1(VALU_DEP_3)
	v_subrev_co_ci_u32_e64 v9, null, 0, v3, vcc_lo
	v_subrev_co_ci_u32_e64 v3, null, s9, v3, vcc_lo
	v_cndmask_b32_e64 v10, 0, -1, s2
	v_cmp_le_u32_e64 s2, s8, v8
	v_cmp_le_u32_e32 vcc_lo, s9, v7
	s_delay_alu instid0(VALU_DEP_2) | instskip(SKIP_3) | instid1(VALU_DEP_3)
	v_cndmask_b32_e64 v11, 0, -1, s2
	v_cmp_le_u32_e64 s2, s9, v9
	v_cndmask_b32_e64 v13, 0, -1, vcc_lo
	v_cmp_eq_u32_e32 vcc_lo, s9, v9
	v_cndmask_b32_e64 v12, 0, -1, s2
	s_delay_alu instid0(VALU_DEP_1) | instskip(SKIP_1) | instid1(VALU_DEP_1)
	v_cndmask_b32_e32 v9, v12, v11, vcc_lo
	v_sub_co_u32 v11, vcc_lo, v8, s8
	v_subrev_co_ci_u32_e64 v3, null, 0, v3, vcc_lo
	v_cmp_eq_u32_e32 vcc_lo, s9, v7
	v_cndmask_b32_e32 v3, v13, v10, vcc_lo
	v_cmp_ne_u32_e32 vcc_lo, 0, v9
	v_cndmask_b32_e32 v7, v8, v11, vcc_lo
	s_delay_alu instid0(VALU_DEP_3) | instskip(NEXT) | instid1(VALU_DEP_2)
	v_cmp_ne_u32_e32 vcc_lo, 0, v3
                                        ; implicit-def: $vgpr10_vgpr11
	v_cndmask_b32_e32 v8, v5, v7, vcc_lo
.LBB14_28:
	s_and_not1_saveexec_b32 s2, s3
	s_cbranch_execz .LBB14_30
; %bb.29:
	v_cvt_f32_u32_e32 v3, s8
	s_sub_co_i32 s3, 0, s8
	s_delay_alu instid0(VALU_DEP_1) | instskip(SKIP_1) | instid1(TRANS32_DEP_1)
	v_rcp_iflag_f32_e32 v3, v3
	v_nop
	v_mul_f32_e32 v3, 0x4f7ffffe, v3
	s_delay_alu instid0(VALU_DEP_1) | instskip(NEXT) | instid1(VALU_DEP_1)
	v_cvt_u32_f32_e32 v3, v3
	v_mul_lo_u32 v5, s3, v3
	s_delay_alu instid0(VALU_DEP_1) | instskip(NEXT) | instid1(VALU_DEP_1)
	v_mul_hi_u32 v5, v3, v5
	v_add_nc_u32_e32 v3, v3, v5
	s_delay_alu instid0(VALU_DEP_1) | instskip(NEXT) | instid1(VALU_DEP_1)
	v_mul_hi_u32 v3, v10, v3
	v_mul_lo_u32 v3, v3, s8
	s_delay_alu instid0(VALU_DEP_1) | instskip(NEXT) | instid1(VALU_DEP_1)
	v_sub_nc_u32_e32 v3, v10, v3
	v_subrev_nc_u32_e32 v5, s8, v3
	v_cmp_le_u32_e32 vcc_lo, s8, v3
	s_delay_alu instid0(VALU_DEP_2) | instskip(NEXT) | instid1(VALU_DEP_1)
	v_cndmask_b32_e32 v3, v3, v5, vcc_lo
	v_subrev_nc_u32_e32 v5, s8, v3
	v_cmp_le_u32_e32 vcc_lo, s8, v3
	s_delay_alu instid0(VALU_DEP_2)
	v_cndmask_b32_e32 v8, v3, v5, vcc_lo
.LBB14_30:
	s_or_b32 exec_lo, exec_lo, s2
	v_mul_lo_u32 v3, v4, s20
	s_load_b96 s[0:2], s[0:1], 0x50
	v_add_nc_u32_e32 v5, 1, v6
	v_cvt_f32_i32_e32 v4, v6
	s_mul_u64 s[18:19], s[14:15], s[12:13]
	s_mov_b32 s3, 0
	s_mul_u64 s[20:21], s[18:19], s[10:11]
	s_delay_alu instid0(VALU_DEP_3) | instskip(SKIP_3) | instid1(VALU_DEP_4)
	v_dual_ashrrev_i32 v9, 31, v8 :: v_dual_sub_nc_u32 v3, v0, v3
	v_add_nc_u32_e32 v6, 1, v2
	v_cvt_f32_i32_e32 v5, v5
	v_cvt_f32_i32_e32 v2, v2
	v_add_nc_u32_e32 v7, 1, v3
	s_delay_alu instid0(VALU_DEP_4) | instskip(SKIP_1) | instid1(VALU_DEP_3)
	v_cvt_f32_i32_e32 v6, v6
	v_cvt_f32_i32_e32 v3, v3
	;; [unrolled: 1-line block ×3, first 2 shown]
	s_wait_kmcnt 0x0
	v_dual_mul_f32 v4, s1, v4 :: v_dual_mul_f32 v5, s1, v5
	v_mul_f32_e32 v6, s0, v6
	v_dual_mul_f32 v2, s0, v2 :: v_dual_mul_f32 v3, s2, v3
	v_mul_f32_e32 v7, s2, v7
	s_delay_alu instid0(VALU_DEP_4) | instskip(NEXT) | instid1(VALU_DEP_4)
	v_ceil_f32_e32 v5, v5
	v_ceil_f32_e32 v6, v6
	;; [unrolled: 1-line block ×6, first 2 shown]
	v_cvt_i32_f32_e32 v5, v5
	v_cvt_i32_f32_e32 v6, v6
	;; [unrolled: 1-line block ×6, first 2 shown]
	v_min_i32_e32 v15, s10, v6
	v_min_i32_e32 v16, s12, v5
	;; [unrolled: 1-line block ×6, first 2 shown]
	v_cmp_gt_i32_e64 s0, v15, v2
	v_cmp_gt_i32_e64 s1, v16, v4
	;; [unrolled: 1-line block ×3, first 2 shown]
	s_mul_u64 s[10:11], s[16:17], s[8:9]
	s_mov_b64 s[12:13], 0
	s_branch .LBB14_33
.LBB14_31:                              ;   in Loop: Header=BB14_33 Depth=1
	s_or_b32 exec_lo, exec_lo, s17
.LBB14_32:                              ;   in Loop: Header=BB14_33 Depth=1
	s_delay_alu instid0(SALU_CYCLE_1)
	s_or_b32 exec_lo, exec_lo, s16
	s_add_nc_u64 s[12:13], s[12:13], 1
	v_add_nc_u64_e32 v[4:5], s[22:23], v[0:1]
	v_cmp_le_u64_e64 s16, s[6:7], s[12:13]
	v_add_nc_u64_e32 v[0:1], s[10:11], v[0:1]
	global_store_b8 v[4:5], v2, off
	s_and_b32 vcc_lo, exec_lo, s16
	s_cbranch_vccnz .LBB14_44
.LBB14_33:                              ; =>This Loop Header: Depth=1
                                        ;     Child Loop BB14_37 Depth 2
                                        ;       Child Loop BB14_40 Depth 3
                                        ;         Child Loop BB14_42 Depth 4
	s_wait_xcnt 0x0
	v_mov_b32_e32 v2, 0
	s_and_saveexec_b32 s16, s0
	s_cbranch_execz .LBB14_32
; %bb.34:                               ;   in Loop: Header=BB14_33 Depth=1
	v_mad_nc_u64_u32 v[2:3], s12, s8, v[8:9]
	s_mul_i32 s17, s13, s8
	s_mul_i32 s24, s12, s9
	v_mov_b32_e32 v20, v18
	s_delay_alu instid0(VALU_DEP_2) | instskip(NEXT) | instid1(VALU_DEP_3)
	v_mad_nc_u64_u32 v[4:5], s20, v2, s[4:5]
	v_add3_u32 v3, s24, s17, v3
	s_mov_b32 s17, 0
	s_delay_alu instid0(VALU_DEP_2) | instskip(NEXT) | instid1(VALU_DEP_1)
	v_mad_u32 v2, s21, v2, v5
	v_mad_u32 v5, s20, v3, v2
	v_mov_b64_e32 v[2:3], 0
	s_branch .LBB14_37
.LBB14_35:                              ;   in Loop: Header=BB14_37 Depth=2
	s_or_b32 exec_lo, exec_lo, s25
.LBB14_36:                              ;   in Loop: Header=BB14_37 Depth=2
	s_delay_alu instid0(SALU_CYCLE_1) | instskip(SKIP_1) | instid1(VALU_DEP_1)
	s_or_b32 exec_lo, exec_lo, s24
	v_add_nc_u32_e32 v20, 1, v20
	v_cmp_ge_i32_e32 vcc_lo, v20, v15
	s_or_b32 s17, vcc_lo, s17
	s_delay_alu instid0(SALU_CYCLE_1)
	s_and_not1_b32 exec_lo, exec_lo, s17
	s_cbranch_execz .LBB14_31
.LBB14_37:                              ;   Parent Loop BB14_33 Depth=1
                                        ; =>  This Loop Header: Depth=2
                                        ;       Child Loop BB14_40 Depth 3
                                        ;         Child Loop BB14_42 Depth 4
	s_and_saveexec_b32 s24, s1
	s_cbranch_execz .LBB14_36
; %bb.38:                               ;   in Loop: Header=BB14_37 Depth=2
	s_delay_alu instid0(VALU_DEP_2) | instskip(SKIP_2) | instid1(VALU_DEP_2)
	v_mad_nc_u64_u32 v[6:7], s18, v20, v[4:5]
	v_dual_mov_b32 v21, v14 :: v_dual_ashrrev_i32 v10, 31, v20
	s_mov_b32 s25, 0
	v_mad_u32 v7, s19, v20, v7
	s_delay_alu instid0(VALU_DEP_1)
	v_mad_u32 v7, s18, v10, v7
	s_branch .LBB14_40
.LBB14_39:                              ;   in Loop: Header=BB14_40 Depth=3
	s_or_b32 exec_lo, exec_lo, s26
	v_add_nc_u32_e32 v21, 1, v21
	s_delay_alu instid0(VALU_DEP_1) | instskip(SKIP_1) | instid1(SALU_CYCLE_1)
	v_cmp_ge_i32_e32 vcc_lo, v21, v16
	s_or_b32 s25, vcc_lo, s25
	s_and_not1_b32 exec_lo, exec_lo, s25
	s_cbranch_execz .LBB14_35
.LBB14_40:                              ;   Parent Loop BB14_33 Depth=1
                                        ;     Parent Loop BB14_37 Depth=2
                                        ; =>    This Loop Header: Depth=3
                                        ;         Child Loop BB14_42 Depth 4
	s_and_saveexec_b32 s26, s2
	s_cbranch_execz .LBB14_39
; %bb.41:                               ;   in Loop: Header=BB14_40 Depth=3
	s_delay_alu instid0(VALU_DEP_1) | instskip(SKIP_2) | instid1(VALU_DEP_2)
	v_mad_nc_u64_u32 v[10:11], s14, v21, v[6:7]
	v_ashrrev_i32_e32 v12, 31, v21
	s_mov_b32 s27, 0
	v_mad_u32 v11, s15, v21, v11
	s_delay_alu instid0(VALU_DEP_1)
	v_mad_u32 v11, s14, v12, v11
	v_mov_b32_e32 v12, v19
.LBB14_42:                              ;   Parent Loop BB14_33 Depth=1
                                        ;     Parent Loop BB14_37 Depth=2
                                        ;       Parent Loop BB14_40 Depth=3
                                        ; =>      This Inner Loop Header: Depth=4
	s_delay_alu instid0(VALU_DEP_1) | instskip(NEXT) | instid1(VALU_DEP_1)
	v_ashrrev_i32_e32 v13, 31, v12
	v_add_nc_u64_e32 v[22:23], v[10:11], v[12:13]
	v_add_nc_u32_e32 v12, 1, v12
	s_delay_alu instid0(VALU_DEP_1)
	v_cmp_ge_i32_e32 vcc_lo, v12, v17
	global_load_u8 v13, v[22:23], off
	s_wait_xcnt 0x0
	v_mov_b32_e32 v23, s3
	s_or_b32 s27, vcc_lo, s27
	s_wait_loadcnt 0x0
	v_and_b32_e32 v22, 0xffff, v13
	s_delay_alu instid0(VALU_DEP_1)
	v_add_nc_u64_e32 v[2:3], v[2:3], v[22:23]
	s_and_not1_b32 exec_lo, exec_lo, s27
	s_cbranch_execnz .LBB14_42
; %bb.43:                               ;   in Loop: Header=BB14_40 Depth=3
	s_or_b32 exec_lo, exec_lo, s27
	s_branch .LBB14_39
.LBB14_44:
	s_endpgm
	.section	.rodata,"a",@progbits
	.p2align	6, 0x0
	.amdhsa_kernel _ZN2at6native12_GLOBAL__N_137upsample_nearest3d_backward_out_frameIhlXadL_ZNS0_40nearest_neighbor_bw_compute_source_indexEfiiEEEEvPKT_mmmmmmmmPS3_fff
		.amdhsa_group_segment_fixed_size 0
		.amdhsa_private_segment_fixed_size 0
		.amdhsa_kernarg_size 352
		.amdhsa_user_sgpr_count 2
		.amdhsa_user_sgpr_dispatch_ptr 0
		.amdhsa_user_sgpr_queue_ptr 0
		.amdhsa_user_sgpr_kernarg_segment_ptr 1
		.amdhsa_user_sgpr_dispatch_id 0
		.amdhsa_user_sgpr_kernarg_preload_length 0
		.amdhsa_user_sgpr_kernarg_preload_offset 0
		.amdhsa_user_sgpr_private_segment_size 0
		.amdhsa_wavefront_size32 1
		.amdhsa_uses_dynamic_stack 0
		.amdhsa_enable_private_segment 0
		.amdhsa_system_sgpr_workgroup_id_x 1
		.amdhsa_system_sgpr_workgroup_id_y 0
		.amdhsa_system_sgpr_workgroup_id_z 0
		.amdhsa_system_sgpr_workgroup_info 0
		.amdhsa_system_vgpr_workitem_id 0
		.amdhsa_next_free_vgpr 24
		.amdhsa_next_free_sgpr 39
		.amdhsa_named_barrier_count 0
		.amdhsa_reserve_vcc 1
		.amdhsa_float_round_mode_32 0
		.amdhsa_float_round_mode_16_64 0
		.amdhsa_float_denorm_mode_32 3
		.amdhsa_float_denorm_mode_16_64 3
		.amdhsa_fp16_overflow 0
		.amdhsa_memory_ordered 1
		.amdhsa_forward_progress 1
		.amdhsa_inst_pref_size 45
		.amdhsa_round_robin_scheduling 0
		.amdhsa_exception_fp_ieee_invalid_op 0
		.amdhsa_exception_fp_denorm_src 0
		.amdhsa_exception_fp_ieee_div_zero 0
		.amdhsa_exception_fp_ieee_overflow 0
		.amdhsa_exception_fp_ieee_underflow 0
		.amdhsa_exception_fp_ieee_inexact 0
		.amdhsa_exception_int_div_zero 0
	.end_amdhsa_kernel
	.section	.text._ZN2at6native12_GLOBAL__N_137upsample_nearest3d_backward_out_frameIhlXadL_ZNS0_40nearest_neighbor_bw_compute_source_indexEfiiEEEEvPKT_mmmmmmmmPS3_fff,"axG",@progbits,_ZN2at6native12_GLOBAL__N_137upsample_nearest3d_backward_out_frameIhlXadL_ZNS0_40nearest_neighbor_bw_compute_source_indexEfiiEEEEvPKT_mmmmmmmmPS3_fff,comdat
.Lfunc_end14:
	.size	_ZN2at6native12_GLOBAL__N_137upsample_nearest3d_backward_out_frameIhlXadL_ZNS0_40nearest_neighbor_bw_compute_source_indexEfiiEEEEvPKT_mmmmmmmmPS3_fff, .Lfunc_end14-_ZN2at6native12_GLOBAL__N_137upsample_nearest3d_backward_out_frameIhlXadL_ZNS0_40nearest_neighbor_bw_compute_source_indexEfiiEEEEvPKT_mmmmmmmmPS3_fff
                                        ; -- End function
	.set _ZN2at6native12_GLOBAL__N_137upsample_nearest3d_backward_out_frameIhlXadL_ZNS0_40nearest_neighbor_bw_compute_source_indexEfiiEEEEvPKT_mmmmmmmmPS3_fff.num_vgpr, 24
	.set _ZN2at6native12_GLOBAL__N_137upsample_nearest3d_backward_out_frameIhlXadL_ZNS0_40nearest_neighbor_bw_compute_source_indexEfiiEEEEvPKT_mmmmmmmmPS3_fff.num_agpr, 0
	.set _ZN2at6native12_GLOBAL__N_137upsample_nearest3d_backward_out_frameIhlXadL_ZNS0_40nearest_neighbor_bw_compute_source_indexEfiiEEEEvPKT_mmmmmmmmPS3_fff.numbered_sgpr, 39
	.set _ZN2at6native12_GLOBAL__N_137upsample_nearest3d_backward_out_frameIhlXadL_ZNS0_40nearest_neighbor_bw_compute_source_indexEfiiEEEEvPKT_mmmmmmmmPS3_fff.num_named_barrier, 0
	.set _ZN2at6native12_GLOBAL__N_137upsample_nearest3d_backward_out_frameIhlXadL_ZNS0_40nearest_neighbor_bw_compute_source_indexEfiiEEEEvPKT_mmmmmmmmPS3_fff.private_seg_size, 0
	.set _ZN2at6native12_GLOBAL__N_137upsample_nearest3d_backward_out_frameIhlXadL_ZNS0_40nearest_neighbor_bw_compute_source_indexEfiiEEEEvPKT_mmmmmmmmPS3_fff.uses_vcc, 1
	.set _ZN2at6native12_GLOBAL__N_137upsample_nearest3d_backward_out_frameIhlXadL_ZNS0_40nearest_neighbor_bw_compute_source_indexEfiiEEEEvPKT_mmmmmmmmPS3_fff.uses_flat_scratch, 0
	.set _ZN2at6native12_GLOBAL__N_137upsample_nearest3d_backward_out_frameIhlXadL_ZNS0_40nearest_neighbor_bw_compute_source_indexEfiiEEEEvPKT_mmmmmmmmPS3_fff.has_dyn_sized_stack, 0
	.set _ZN2at6native12_GLOBAL__N_137upsample_nearest3d_backward_out_frameIhlXadL_ZNS0_40nearest_neighbor_bw_compute_source_indexEfiiEEEEvPKT_mmmmmmmmPS3_fff.has_recursion, 0
	.set _ZN2at6native12_GLOBAL__N_137upsample_nearest3d_backward_out_frameIhlXadL_ZNS0_40nearest_neighbor_bw_compute_source_indexEfiiEEEEvPKT_mmmmmmmmPS3_fff.has_indirect_call, 0
	.section	.AMDGPU.csdata,"",@progbits
; Kernel info:
; codeLenInByte = 5728
; TotalNumSgprs: 41
; NumVgprs: 24
; ScratchSize: 0
; MemoryBound: 0
; FloatMode: 240
; IeeeMode: 1
; LDSByteSize: 0 bytes/workgroup (compile time only)
; SGPRBlocks: 0
; VGPRBlocks: 1
; NumSGPRsForWavesPerEU: 41
; NumVGPRsForWavesPerEU: 24
; NamedBarCnt: 0
; Occupancy: 16
; WaveLimiterHint : 0
; COMPUTE_PGM_RSRC2:SCRATCH_EN: 0
; COMPUTE_PGM_RSRC2:USER_SGPR: 2
; COMPUTE_PGM_RSRC2:TRAP_HANDLER: 0
; COMPUTE_PGM_RSRC2:TGID_X_EN: 1
; COMPUTE_PGM_RSRC2:TGID_Y_EN: 0
; COMPUTE_PGM_RSRC2:TGID_Z_EN: 0
; COMPUTE_PGM_RSRC2:TIDIG_COMP_CNT: 0
	.section	.text._ZN2at6native12_GLOBAL__N_137upsample_nearest3d_backward_out_frameIddXadL_ZNS0_46nearest_neighbor_exact_bw_compute_source_indexEfiiEEEEvPKT_mmmmmmmmPS3_fff,"axG",@progbits,_ZN2at6native12_GLOBAL__N_137upsample_nearest3d_backward_out_frameIddXadL_ZNS0_46nearest_neighbor_exact_bw_compute_source_indexEfiiEEEEvPKT_mmmmmmmmPS3_fff,comdat
	.globl	_ZN2at6native12_GLOBAL__N_137upsample_nearest3d_backward_out_frameIddXadL_ZNS0_46nearest_neighbor_exact_bw_compute_source_indexEfiiEEEEvPKT_mmmmmmmmPS3_fff ; -- Begin function _ZN2at6native12_GLOBAL__N_137upsample_nearest3d_backward_out_frameIddXadL_ZNS0_46nearest_neighbor_exact_bw_compute_source_indexEfiiEEEEvPKT_mmmmmmmmPS3_fff
	.p2align	8
	.type	_ZN2at6native12_GLOBAL__N_137upsample_nearest3d_backward_out_frameIddXadL_ZNS0_46nearest_neighbor_exact_bw_compute_source_indexEfiiEEEEvPKT_mmmmmmmmPS3_fff,@function
_ZN2at6native12_GLOBAL__N_137upsample_nearest3d_backward_out_frameIddXadL_ZNS0_46nearest_neighbor_exact_bw_compute_source_indexEfiiEEEEvPKT_mmmmmmmmPS3_fff: ; @_ZN2at6native12_GLOBAL__N_137upsample_nearest3d_backward_out_frameIddXadL_ZNS0_46nearest_neighbor_exact_bw_compute_source_indexEfiiEEEEvPKT_mmmmmmmmPS3_fff
; %bb.0:
	s_clause 0x2
	s_load_b32 s2, s[0:1], 0x6c
	s_load_b512 s[4:19], s[0:1], 0x0
	s_load_b128 s[20:23], s[0:1], 0x40
	s_bfe_u32 s3, ttmp6, 0x4000c
	v_mov_b32_e32 v2, 0
	s_add_co_i32 s3, s3, 1
	s_and_b32 s24, ttmp6, 15
	s_mul_i32 s3, ttmp9, s3
	s_getreg_b32 s25, hwreg(HW_REG_IB_STS2, 6, 4)
	v_mov_b32_e32 v1, v2
	s_add_co_i32 s24, s24, s3
	s_wait_kmcnt 0x0
	s_and_b32 s2, s2, 0xffff
	s_cmp_eq_u32 s25, 0
	s_cselect_b32 s3, ttmp9, s24
	s_mul_u64 s[24:25], s[18:19], s[16:17]
	v_mad_nc_u64_u32 v[0:1], s2, s3, v[0:1]
	s_mul_u64 s[2:3], s[24:25], s[8:9]
	s_delay_alu instid0(SALU_CYCLE_1)
	s_mul_u64 s[2:3], s[2:3], s[20:21]
	s_delay_alu instid0(VALU_DEP_1) | instid1(SALU_CYCLE_1)
	v_cmp_gt_u64_e32 vcc_lo, s[2:3], v[0:1]
	s_and_saveexec_b32 s2, vcc_lo
	s_cbranch_execz .LBB15_44
; %bb.1:
	v_or_b32_e32 v3, s19, v1
	s_delay_alu instid0(VALU_DEP_1) | instskip(SKIP_1) | instid1(SALU_CYCLE_1)
	v_cmp_ne_u64_e32 vcc_lo, 0, v[2:3]
                                        ; implicit-def: $vgpr2_vgpr3
	s_and_saveexec_b32 s2, vcc_lo
	s_xor_b32 s3, exec_lo, s2
	s_cbranch_execz .LBB15_3
; %bb.2:
	s_cvt_f32_u32 s2, s18
	s_cvt_f32_u32 s26, s19
	s_sub_nc_u64 s[28:29], 0, s[18:19]
	s_mov_b32 s35, 0
	v_dual_mov_b32 v3, 0 :: v_dual_mov_b32 v2, v0
	s_fmamk_f32 s2, s26, 0x4f800000, s2
	s_delay_alu instid0(SALU_CYCLE_3) | instskip(NEXT) | instid1(TRANS32_DEP_1)
	v_s_rcp_f32 s2, s2
	s_mul_f32 s2, s2, 0x5f7ffffc
	s_delay_alu instid0(SALU_CYCLE_3) | instskip(NEXT) | instid1(SALU_CYCLE_3)
	s_mul_f32 s26, s2, 0x2f800000
	s_trunc_f32 s26, s26
	s_delay_alu instid0(SALU_CYCLE_3) | instskip(SKIP_1) | instid1(SALU_CYCLE_2)
	s_fmamk_f32 s2, s26, 0xcf800000, s2
	s_cvt_u32_f32 s27, s26
	s_cvt_u32_f32 s26, s2
	s_delay_alu instid0(SALU_CYCLE_3) | instskip(NEXT) | instid1(SALU_CYCLE_1)
	s_mul_u64 s[30:31], s[28:29], s[26:27]
	s_mul_hi_u32 s37, s26, s31
	s_mul_i32 s36, s26, s31
	s_mul_hi_u32 s34, s26, s30
	s_mul_i32 s33, s27, s30
	s_add_nc_u64 s[36:37], s[34:35], s[36:37]
	s_mul_hi_u32 s2, s27, s30
	s_mul_hi_u32 s38, s27, s31
	s_mul_i32 s30, s27, s31
	s_add_co_u32 s31, s36, s33
	s_add_co_ci_u32 s34, s37, s2
	s_add_co_ci_u32 s31, s38, 0
	s_delay_alu instid0(SALU_CYCLE_1) | instskip(NEXT) | instid1(SALU_CYCLE_1)
	s_add_nc_u64 s[30:31], s[34:35], s[30:31]
	s_add_co_u32 s26, s26, s30
	s_cselect_b32 s2, -1, 0
	s_delay_alu instid0(SALU_CYCLE_1) | instskip(SKIP_1) | instid1(SALU_CYCLE_1)
	s_cmp_lg_u32 s2, 0
	s_add_co_ci_u32 s27, s27, s31
	s_mul_u64 s[28:29], s[28:29], s[26:27]
	s_delay_alu instid0(SALU_CYCLE_1)
	s_mul_hi_u32 s31, s26, s29
	s_mul_i32 s30, s26, s29
	s_mul_hi_u32 s34, s26, s28
	s_mul_i32 s33, s27, s28
	s_add_nc_u64 s[30:31], s[34:35], s[30:31]
	s_mul_hi_u32 s2, s27, s28
	s_mul_hi_u32 s36, s27, s29
	s_mul_i32 s28, s27, s29
	s_add_co_u32 s29, s30, s33
	s_add_co_ci_u32 s34, s31, s2
	s_add_co_ci_u32 s29, s36, 0
	s_delay_alu instid0(SALU_CYCLE_1) | instskip(NEXT) | instid1(SALU_CYCLE_1)
	s_add_nc_u64 s[28:29], s[34:35], s[28:29]
	s_add_co_u32 s2, s26, s28
	s_cselect_b32 s26, -1, 0
	s_delay_alu instid0(SALU_CYCLE_1)
	s_cmp_lg_u32 s26, 0
	s_add_co_ci_u32 s34, s27, s29
	s_mov_b64 s[26:27], 0xffffffff
	v_mul_u64_e32 v[4:5], s[34:35], v[2:3]
	v_mul_hi_u32 v2, v0, s2
	s_and_b64 s[26:27], s[2:3], s[26:27]
	s_delay_alu instid0(VALU_DEP_1) | instskip(SKIP_1) | instid1(VALU_DEP_1)
	v_add_nc_u64_e32 v[4:5], v[2:3], v[4:5]
	v_mov_b32_e32 v2, v1
	v_mul_u64_e32 v[6:7], s[26:27], v[2:3]
	v_mul_u64_e32 v[8:9], s[34:35], v[2:3]
	s_delay_alu instid0(VALU_DEP_2) | instskip(NEXT) | instid1(VALU_DEP_3)
	v_add_co_u32 v2, vcc_lo, v4, v6
	v_add_co_ci_u32_e32 v2, vcc_lo, v5, v7, vcc_lo
	s_delay_alu instid0(VALU_DEP_3) | instskip(NEXT) | instid1(VALU_DEP_1)
	v_add_co_ci_u32_e32 v9, vcc_lo, 0, v9, vcc_lo
	v_add_nc_u64_e32 v[2:3], v[2:3], v[8:9]
	s_delay_alu instid0(VALU_DEP_1) | instskip(NEXT) | instid1(VALU_DEP_1)
	v_mul_u64_e32 v[4:5], s[18:19], v[2:3]
	v_sub_nc_u32_e32 v6, v1, v5
	s_delay_alu instid0(VALU_DEP_2) | instskip(NEXT) | instid1(VALU_DEP_1)
	v_sub_co_u32 v4, vcc_lo, v0, v4
	v_sub_co_ci_u32_e64 v11, null, v1, v5, vcc_lo
	s_delay_alu instid0(VALU_DEP_3) | instskip(NEXT) | instid1(VALU_DEP_3)
	v_subrev_co_ci_u32_e64 v6, null, s19, v6, vcc_lo
	v_sub_co_u32 v8, s2, v4, s18
	v_cmp_le_u32_e32 vcc_lo, s18, v4
	s_delay_alu instid0(VALU_DEP_3) | instskip(NEXT) | instid1(VALU_DEP_3)
	v_subrev_co_ci_u32_e64 v9, null, 0, v6, s2
	v_cmp_le_u32_e64 s2, s18, v8
	v_add_nc_u64_e32 v[6:7], 2, v[2:3]
	v_cndmask_b32_e64 v12, 0, -1, vcc_lo
	s_delay_alu instid0(VALU_DEP_4) | instskip(SKIP_3) | instid1(VALU_DEP_1)
	v_cmp_eq_u32_e32 vcc_lo, s19, v9
	v_add_nc_u64_e32 v[4:5], 1, v[2:3]
	v_cndmask_b32_e64 v8, 0, -1, s2
	v_cmp_le_u32_e64 s2, s19, v9
	v_cndmask_b32_e64 v10, 0, -1, s2
	v_cmp_eq_u32_e64 s2, s19, v11
	s_delay_alu instid0(VALU_DEP_2) | instskip(SKIP_2) | instid1(VALU_DEP_3)
	v_cndmask_b32_e32 v8, v10, v8, vcc_lo
	v_cmp_le_u32_e32 vcc_lo, s19, v11
	v_cndmask_b32_e64 v9, 0, -1, vcc_lo
	v_cmp_ne_u32_e32 vcc_lo, 0, v8
	s_delay_alu instid0(VALU_DEP_2) | instskip(SKIP_1) | instid1(VALU_DEP_2)
	v_dual_cndmask_b32 v8, v9, v12, s2 :: v_dual_cndmask_b32 v4, v4, v6, vcc_lo
	v_cndmask_b32_e32 v5, v5, v7, vcc_lo
	v_cmp_ne_u32_e32 vcc_lo, 0, v8
	s_delay_alu instid0(VALU_DEP_2)
	v_dual_cndmask_b32 v3, v3, v5 :: v_dual_cndmask_b32 v2, v2, v4
.LBB15_3:
	s_and_not1_saveexec_b32 s2, s3
	s_cbranch_execz .LBB15_5
; %bb.4:
	v_cvt_f32_u32_e32 v2, s18
	s_sub_co_i32 s3, 0, s18
	s_delay_alu instid0(VALU_DEP_1) | instskip(SKIP_1) | instid1(TRANS32_DEP_1)
	v_rcp_iflag_f32_e32 v2, v2
	v_nop
	v_mul_f32_e32 v2, 0x4f7ffffe, v2
	s_delay_alu instid0(VALU_DEP_1) | instskip(NEXT) | instid1(VALU_DEP_1)
	v_cvt_u32_f32_e32 v2, v2
	v_mul_lo_u32 v3, s3, v2
	s_delay_alu instid0(VALU_DEP_1) | instskip(NEXT) | instid1(VALU_DEP_1)
	v_mul_hi_u32 v3, v2, v3
	v_add_nc_u32_e32 v2, v2, v3
	s_delay_alu instid0(VALU_DEP_1) | instskip(NEXT) | instid1(VALU_DEP_1)
	v_mul_hi_u32 v2, v0, v2
	v_mul_lo_u32 v3, v2, s18
	s_delay_alu instid0(VALU_DEP_1) | instskip(NEXT) | instid1(VALU_DEP_1)
	v_dual_add_nc_u32 v4, 1, v2 :: v_dual_sub_nc_u32 v3, v0, v3
	v_subrev_nc_u32_e32 v5, s18, v3
	v_cmp_le_u32_e32 vcc_lo, s18, v3
	s_delay_alu instid0(VALU_DEP_2) | instskip(NEXT) | instid1(VALU_DEP_1)
	v_dual_cndmask_b32 v3, v3, v5 :: v_dual_cndmask_b32 v2, v2, v4
	v_cmp_le_u32_e32 vcc_lo, s18, v3
	s_delay_alu instid0(VALU_DEP_2) | instskip(NEXT) | instid1(VALU_DEP_1)
	v_dual_mov_b32 v3, 0 :: v_dual_add_nc_u32 v4, 1, v2
	v_cndmask_b32_e32 v2, v2, v4, vcc_lo
.LBB15_5:
	s_or_b32 exec_lo, exec_lo, s2
	s_delay_alu instid0(VALU_DEP_1) | instskip(SKIP_1) | instid1(VALU_DEP_1)
	v_dual_mov_b32 v6, 0 :: v_dual_bitop2_b32 v7, s21, v3 bitop3:0x54
                                        ; implicit-def: $vgpr4_vgpr5
	s_mov_b32 s2, exec_lo
	v_cmpx_ne_u64_e32 0, v[6:7]
	s_xor_b32 s3, exec_lo, s2
	s_cbranch_execz .LBB15_7
; %bb.6:
	s_cvt_f32_u32 s2, s20
	s_cvt_f32_u32 s26, s21
	s_sub_nc_u64 s[28:29], 0, s[20:21]
	s_mov_b32 s35, 0
	v_dual_mov_b32 v4, v2 :: v_dual_mov_b32 v5, v6
	s_fmamk_f32 s2, s26, 0x4f800000, s2
	v_dual_mov_b32 v8, v3 :: v_dual_mov_b32 v9, v6
	v_dual_mov_b32 v13, v6 :: v_dual_mov_b32 v7, v6
	s_delay_alu instid0(SALU_CYCLE_1) | instskip(NEXT) | instid1(TRANS32_DEP_1)
	v_s_rcp_f32 s2, s2
	s_mul_f32 s2, s2, 0x5f7ffffc
	s_delay_alu instid0(SALU_CYCLE_3) | instskip(NEXT) | instid1(SALU_CYCLE_3)
	s_mul_f32 s26, s2, 0x2f800000
	s_trunc_f32 s26, s26
	s_delay_alu instid0(SALU_CYCLE_3) | instskip(SKIP_1) | instid1(SALU_CYCLE_2)
	s_fmamk_f32 s2, s26, 0xcf800000, s2
	s_cvt_u32_f32 s27, s26
	s_cvt_u32_f32 s26, s2
	s_delay_alu instid0(SALU_CYCLE_3) | instskip(NEXT) | instid1(SALU_CYCLE_1)
	s_mul_u64 s[30:31], s[28:29], s[26:27]
	s_mul_hi_u32 s37, s26, s31
	s_mul_i32 s36, s26, s31
	s_mul_hi_u32 s34, s26, s30
	s_mul_i32 s33, s27, s30
	s_add_nc_u64 s[36:37], s[34:35], s[36:37]
	s_mul_hi_u32 s2, s27, s30
	s_mul_hi_u32 s38, s27, s31
	s_mul_i32 s30, s27, s31
	s_add_co_u32 s31, s36, s33
	s_add_co_ci_u32 s34, s37, s2
	s_add_co_ci_u32 s31, s38, 0
	s_delay_alu instid0(SALU_CYCLE_1) | instskip(NEXT) | instid1(SALU_CYCLE_1)
	s_add_nc_u64 s[30:31], s[34:35], s[30:31]
	s_add_co_u32 s26, s26, s30
	s_cselect_b32 s2, -1, 0
	s_delay_alu instid0(SALU_CYCLE_1) | instskip(SKIP_1) | instid1(SALU_CYCLE_1)
	s_cmp_lg_u32 s2, 0
	s_add_co_ci_u32 s27, s27, s31
	s_mul_u64 s[28:29], s[28:29], s[26:27]
	s_delay_alu instid0(SALU_CYCLE_1)
	s_mul_hi_u32 s31, s26, s29
	s_mul_i32 s30, s26, s29
	s_mul_hi_u32 s34, s26, s28
	s_mul_i32 s33, s27, s28
	s_add_nc_u64 s[30:31], s[34:35], s[30:31]
	s_mul_hi_u32 s2, s27, s28
	s_mul_hi_u32 s36, s27, s29
	s_mul_i32 s28, s27, s29
	s_add_co_u32 s29, s30, s33
	s_add_co_ci_u32 s34, s31, s2
	s_add_co_ci_u32 s29, s36, 0
	s_delay_alu instid0(SALU_CYCLE_1) | instskip(NEXT) | instid1(SALU_CYCLE_1)
	s_add_nc_u64 s[28:29], s[34:35], s[28:29]
	s_add_co_u32 s2, s26, s28
	s_cselect_b32 s26, -1, 0
	v_nop
	v_mul_hi_u32 v12, v2, s2
	s_cmp_lg_u32 s26, 0
	s_add_co_ci_u32 s34, s27, s29
	s_mov_b64 s[26:27], 0xffffffff
	v_mul_u64_e32 v[4:5], s[34:35], v[4:5]
	s_and_b64 s[26:27], s[2:3], s[26:27]
	s_delay_alu instid0(SALU_CYCLE_1) | instskip(SKIP_1) | instid1(VALU_DEP_3)
	v_mul_u64_e32 v[10:11], s[26:27], v[8:9]
	v_mul_u64_e32 v[8:9], s[34:35], v[8:9]
	v_add_nc_u64_e32 v[4:5], v[12:13], v[4:5]
	s_delay_alu instid0(VALU_DEP_1) | instskip(NEXT) | instid1(VALU_DEP_2)
	v_add_co_u32 v4, vcc_lo, v4, v10
	v_add_co_ci_u32_e32 v6, vcc_lo, v5, v11, vcc_lo
	s_delay_alu instid0(VALU_DEP_4) | instskip(NEXT) | instid1(VALU_DEP_1)
	v_add_co_ci_u32_e32 v9, vcc_lo, 0, v9, vcc_lo
	v_add_nc_u64_e32 v[4:5], v[6:7], v[8:9]
	s_delay_alu instid0(VALU_DEP_1) | instskip(NEXT) | instid1(VALU_DEP_1)
	v_mul_u64_e32 v[6:7], s[20:21], v[4:5]
	v_sub_nc_u32_e32 v8, v3, v7
	s_delay_alu instid0(VALU_DEP_2) | instskip(NEXT) | instid1(VALU_DEP_1)
	v_sub_co_u32 v2, vcc_lo, v2, v6
	v_sub_co_ci_u32_e64 v7, null, v3, v7, vcc_lo
	s_delay_alu instid0(VALU_DEP_3) | instskip(NEXT) | instid1(VALU_DEP_3)
	v_subrev_co_ci_u32_e64 v6, null, s21, v8, vcc_lo
	v_sub_co_u32 v10, s2, v2, s20
	v_cmp_le_u32_e32 vcc_lo, s20, v2
	s_delay_alu instid0(VALU_DEP_3) | instskip(NEXT) | instid1(VALU_DEP_3)
	v_subrev_co_ci_u32_e64 v6, null, 0, v6, s2
	v_cmp_le_u32_e64 s2, s20, v10
	v_add_nc_u64_e32 v[8:9], 2, v[4:5]
	v_cndmask_b32_e64 v12, 0, -1, vcc_lo
	s_delay_alu instid0(VALU_DEP_4) | instskip(SKIP_3) | instid1(VALU_DEP_1)
	v_cmp_eq_u32_e32 vcc_lo, s21, v6
	v_add_nc_u64_e32 v[2:3], 1, v[4:5]
	v_cndmask_b32_e64 v10, 0, -1, s2
	v_cmp_le_u32_e64 s2, s21, v6
	v_cndmask_b32_e64 v11, 0, -1, s2
	v_cmp_eq_u32_e64 s2, s21, v7
	s_delay_alu instid0(VALU_DEP_2) | instskip(SKIP_2) | instid1(VALU_DEP_3)
	v_cndmask_b32_e32 v6, v11, v10, vcc_lo
	v_cmp_le_u32_e32 vcc_lo, s21, v7
	v_cndmask_b32_e64 v10, 0, -1, vcc_lo
	v_cmp_ne_u32_e32 vcc_lo, 0, v6
	s_delay_alu instid0(VALU_DEP_2) | instskip(SKIP_1) | instid1(VALU_DEP_2)
	v_cndmask_b32_e64 v6, v10, v12, s2
	v_dual_cndmask_b32 v2, v2, v8 :: v_dual_cndmask_b32 v3, v3, v9
	v_cmp_ne_u32_e32 vcc_lo, 0, v6
	s_delay_alu instid0(VALU_DEP_2)
	v_dual_cndmask_b32 v4, v4, v2 :: v_dual_cndmask_b32 v5, v5, v3
                                        ; implicit-def: $vgpr2_vgpr3
.LBB15_7:
	s_and_not1_saveexec_b32 s2, s3
	s_cbranch_execz .LBB15_9
; %bb.8:
	v_cvt_f32_u32_e32 v3, s20
	s_sub_co_i32 s3, 0, s20
	s_delay_alu instid0(VALU_DEP_1) | instskip(SKIP_1) | instid1(TRANS32_DEP_1)
	v_rcp_iflag_f32_e32 v3, v3
	v_nop
	v_mul_f32_e32 v3, 0x4f7ffffe, v3
	s_delay_alu instid0(VALU_DEP_1) | instskip(NEXT) | instid1(VALU_DEP_1)
	v_cvt_u32_f32_e32 v3, v3
	v_mul_lo_u32 v4, s3, v3
	s_delay_alu instid0(VALU_DEP_1) | instskip(NEXT) | instid1(VALU_DEP_1)
	v_mul_hi_u32 v4, v3, v4
	v_add_nc_u32_e32 v3, v3, v4
	s_delay_alu instid0(VALU_DEP_1) | instskip(NEXT) | instid1(VALU_DEP_1)
	v_mul_hi_u32 v3, v2, v3
	v_mul_lo_u32 v4, v3, s20
	s_delay_alu instid0(VALU_DEP_1) | instskip(NEXT) | instid1(VALU_DEP_1)
	v_dual_sub_nc_u32 v2, v2, v4 :: v_dual_add_nc_u32 v4, 1, v3
	v_subrev_nc_u32_e32 v5, s20, v2
	v_cmp_le_u32_e32 vcc_lo, s20, v2
	s_delay_alu instid0(VALU_DEP_2) | instskip(NEXT) | instid1(VALU_DEP_4)
	v_dual_cndmask_b32 v2, v2, v5 :: v_dual_mov_b32 v5, 0
	v_cndmask_b32_e32 v3, v3, v4, vcc_lo
	s_delay_alu instid0(VALU_DEP_2) | instskip(NEXT) | instid1(VALU_DEP_2)
	v_cmp_le_u32_e32 vcc_lo, s20, v2
	v_add_nc_u32_e32 v4, 1, v3
	s_delay_alu instid0(VALU_DEP_1)
	v_cndmask_b32_e32 v4, v3, v4, vcc_lo
.LBB15_9:
	s_or_b32 exec_lo, exec_lo, s2
	s_delay_alu instid0(VALU_DEP_1) | instskip(SKIP_1) | instid1(VALU_DEP_1)
	v_dual_mov_b32 v6, 0 :: v_dual_bitop2_b32 v7, s17, v5 bitop3:0x54
                                        ; implicit-def: $vgpr2_vgpr3
	s_mov_b32 s2, exec_lo
	v_cmpx_ne_u64_e32 0, v[6:7]
	s_xor_b32 s3, exec_lo, s2
	s_cbranch_execz .LBB15_11
; %bb.10:
	s_cvt_f32_u32 s2, s16
	s_cvt_f32_u32 s26, s17
	s_sub_nc_u64 s[28:29], 0, s[16:17]
	s_mov_b32 s35, 0
	v_dual_mov_b32 v2, v4 :: v_dual_mov_b32 v3, v6
	s_fmamk_f32 s2, s26, 0x4f800000, s2
	v_dual_mov_b32 v8, v5 :: v_dual_mov_b32 v9, v6
	v_dual_mov_b32 v13, v6 :: v_dual_mov_b32 v7, v6
	s_delay_alu instid0(SALU_CYCLE_1) | instskip(NEXT) | instid1(TRANS32_DEP_1)
	v_s_rcp_f32 s2, s2
	s_mul_f32 s2, s2, 0x5f7ffffc
	s_delay_alu instid0(SALU_CYCLE_3) | instskip(NEXT) | instid1(SALU_CYCLE_3)
	s_mul_f32 s26, s2, 0x2f800000
	s_trunc_f32 s26, s26
	s_delay_alu instid0(SALU_CYCLE_3) | instskip(SKIP_1) | instid1(SALU_CYCLE_2)
	s_fmamk_f32 s2, s26, 0xcf800000, s2
	s_cvt_u32_f32 s27, s26
	s_cvt_u32_f32 s26, s2
	s_delay_alu instid0(SALU_CYCLE_3) | instskip(NEXT) | instid1(SALU_CYCLE_1)
	s_mul_u64 s[30:31], s[28:29], s[26:27]
	s_mul_hi_u32 s37, s26, s31
	s_mul_i32 s36, s26, s31
	s_mul_hi_u32 s34, s26, s30
	s_mul_i32 s33, s27, s30
	s_add_nc_u64 s[36:37], s[34:35], s[36:37]
	s_mul_hi_u32 s2, s27, s30
	s_mul_hi_u32 s38, s27, s31
	s_mul_i32 s30, s27, s31
	s_add_co_u32 s31, s36, s33
	s_add_co_ci_u32 s34, s37, s2
	s_add_co_ci_u32 s31, s38, 0
	s_delay_alu instid0(SALU_CYCLE_1) | instskip(NEXT) | instid1(SALU_CYCLE_1)
	s_add_nc_u64 s[30:31], s[34:35], s[30:31]
	s_add_co_u32 s26, s26, s30
	s_cselect_b32 s2, -1, 0
	s_delay_alu instid0(SALU_CYCLE_1) | instskip(SKIP_1) | instid1(SALU_CYCLE_1)
	s_cmp_lg_u32 s2, 0
	s_add_co_ci_u32 s27, s27, s31
	s_mul_u64 s[28:29], s[28:29], s[26:27]
	s_delay_alu instid0(SALU_CYCLE_1)
	s_mul_hi_u32 s31, s26, s29
	s_mul_i32 s30, s26, s29
	s_mul_hi_u32 s34, s26, s28
	s_mul_i32 s33, s27, s28
	s_add_nc_u64 s[30:31], s[34:35], s[30:31]
	s_mul_hi_u32 s2, s27, s28
	s_mul_hi_u32 s36, s27, s29
	s_mul_i32 s28, s27, s29
	s_add_co_u32 s29, s30, s33
	s_add_co_ci_u32 s34, s31, s2
	s_add_co_ci_u32 s29, s36, 0
	s_delay_alu instid0(SALU_CYCLE_1) | instskip(NEXT) | instid1(SALU_CYCLE_1)
	s_add_nc_u64 s[28:29], s[34:35], s[28:29]
	s_add_co_u32 s2, s26, s28
	s_cselect_b32 s26, -1, 0
	v_nop
	v_mul_hi_u32 v12, v4, s2
	s_cmp_lg_u32 s26, 0
	s_add_co_ci_u32 s34, s27, s29
	s_mov_b64 s[26:27], 0xffffffff
	v_mul_u64_e32 v[2:3], s[34:35], v[2:3]
	s_and_b64 s[26:27], s[2:3], s[26:27]
	s_delay_alu instid0(SALU_CYCLE_1) | instskip(SKIP_1) | instid1(VALU_DEP_3)
	v_mul_u64_e32 v[10:11], s[26:27], v[8:9]
	v_mul_u64_e32 v[8:9], s[34:35], v[8:9]
	v_add_nc_u64_e32 v[2:3], v[12:13], v[2:3]
	s_delay_alu instid0(VALU_DEP_1) | instskip(NEXT) | instid1(VALU_DEP_2)
	v_add_co_u32 v2, vcc_lo, v2, v10
	v_add_co_ci_u32_e32 v6, vcc_lo, v3, v11, vcc_lo
	s_delay_alu instid0(VALU_DEP_4) | instskip(NEXT) | instid1(VALU_DEP_1)
	v_add_co_ci_u32_e32 v9, vcc_lo, 0, v9, vcc_lo
	v_add_nc_u64_e32 v[2:3], v[6:7], v[8:9]
	s_delay_alu instid0(VALU_DEP_1) | instskip(NEXT) | instid1(VALU_DEP_1)
	v_mul_u64_e32 v[2:3], s[16:17], v[2:3]
	v_sub_nc_u32_e32 v6, v5, v3
	s_delay_alu instid0(VALU_DEP_2) | instskip(NEXT) | instid1(VALU_DEP_1)
	v_sub_co_u32 v2, vcc_lo, v4, v2
	v_sub_co_ci_u32_e64 v3, null, v5, v3, vcc_lo
	s_delay_alu instid0(VALU_DEP_3) | instskip(NEXT) | instid1(VALU_DEP_3)
	v_subrev_co_ci_u32_e64 v4, null, s17, v6, vcc_lo
	v_sub_co_u32 v5, vcc_lo, v2, s16
	v_cmp_le_u32_e64 s2, s16, v2
	s_delay_alu instid0(VALU_DEP_3) | instskip(SKIP_1) | instid1(VALU_DEP_3)
	v_subrev_co_ci_u32_e64 v6, null, 0, v4, vcc_lo
	v_subrev_co_ci_u32_e64 v4, null, s17, v4, vcc_lo
	v_cndmask_b32_e64 v7, 0, -1, s2
	v_cmp_le_u32_e64 s2, s16, v5
	v_cmp_le_u32_e32 vcc_lo, s17, v3
	s_delay_alu instid0(VALU_DEP_2) | instskip(SKIP_3) | instid1(VALU_DEP_3)
	v_cndmask_b32_e64 v8, 0, -1, s2
	v_cmp_le_u32_e64 s2, s17, v6
	v_cndmask_b32_e64 v10, 0, -1, vcc_lo
	v_cmp_eq_u32_e32 vcc_lo, s17, v6
	v_cndmask_b32_e64 v9, 0, -1, s2
	s_delay_alu instid0(VALU_DEP_1) | instskip(SKIP_1) | instid1(VALU_DEP_1)
	v_cndmask_b32_e32 v6, v9, v8, vcc_lo
	v_sub_co_u32 v8, vcc_lo, v5, s16
	v_subrev_co_ci_u32_e64 v4, null, 0, v4, vcc_lo
	v_cmp_eq_u32_e32 vcc_lo, s17, v3
	v_cndmask_b32_e32 v3, v10, v7, vcc_lo
	v_cmp_ne_u32_e32 vcc_lo, 0, v6
	v_cndmask_b32_e32 v4, v5, v8, vcc_lo
	s_delay_alu instid0(VALU_DEP_3) | instskip(NEXT) | instid1(VALU_DEP_2)
	v_cmp_ne_u32_e32 vcc_lo, 0, v3
	v_cndmask_b32_e32 v2, v2, v4, vcc_lo
                                        ; implicit-def: $vgpr4_vgpr5
.LBB15_11:
	s_and_not1_saveexec_b32 s2, s3
	s_cbranch_execz .LBB15_13
; %bb.12:
	v_cvt_f32_u32_e32 v2, s16
	s_sub_co_i32 s3, 0, s16
	s_delay_alu instid0(VALU_DEP_1) | instskip(SKIP_1) | instid1(TRANS32_DEP_1)
	v_rcp_iflag_f32_e32 v2, v2
	v_nop
	v_mul_f32_e32 v2, 0x4f7ffffe, v2
	s_delay_alu instid0(VALU_DEP_1) | instskip(NEXT) | instid1(VALU_DEP_1)
	v_cvt_u32_f32_e32 v2, v2
	v_mul_lo_u32 v3, s3, v2
	s_delay_alu instid0(VALU_DEP_1) | instskip(NEXT) | instid1(VALU_DEP_1)
	v_mul_hi_u32 v3, v2, v3
	v_add_nc_u32_e32 v2, v2, v3
	s_delay_alu instid0(VALU_DEP_1) | instskip(NEXT) | instid1(VALU_DEP_1)
	v_mul_hi_u32 v2, v4, v2
	v_mul_lo_u32 v2, v2, s16
	s_delay_alu instid0(VALU_DEP_1) | instskip(NEXT) | instid1(VALU_DEP_1)
	v_sub_nc_u32_e32 v2, v4, v2
	v_subrev_nc_u32_e32 v3, s16, v2
	v_cmp_le_u32_e32 vcc_lo, s16, v2
	s_delay_alu instid0(VALU_DEP_2) | instskip(NEXT) | instid1(VALU_DEP_1)
	v_cndmask_b32_e32 v2, v2, v3, vcc_lo
	v_subrev_nc_u32_e32 v3, s16, v2
	v_cmp_le_u32_e32 vcc_lo, s16, v2
	s_delay_alu instid0(VALU_DEP_2)
	v_cndmask_b32_e32 v2, v2, v3, vcc_lo
.LBB15_13:
	s_or_b32 exec_lo, exec_lo, s2
	v_dual_mov_b32 v6, 0 :: v_dual_bitop2_b32 v7, s21, v1 bitop3:0x54
                                        ; implicit-def: $vgpr4_vgpr5
	s_mov_b32 s2, exec_lo
	s_delay_alu instid0(VALU_DEP_1)
	v_cmpx_ne_u64_e32 0, v[6:7]
	s_xor_b32 s3, exec_lo, s2
	s_cbranch_execz .LBB15_15
; %bb.14:
	s_cvt_f32_u32 s2, s20
	s_cvt_f32_u32 s16, s21
	s_sub_nc_u64 s[26:27], 0, s[20:21]
	s_mov_b32 s31, 0
	v_dual_mov_b32 v4, v0 :: v_dual_mov_b32 v5, v6
	s_fmamk_f32 s2, s16, 0x4f800000, s2
	v_dual_mov_b32 v8, v1 :: v_dual_mov_b32 v9, v6
	v_dual_mov_b32 v13, v6 :: v_dual_mov_b32 v7, v6
	s_delay_alu instid0(SALU_CYCLE_1) | instskip(NEXT) | instid1(TRANS32_DEP_1)
	v_s_rcp_f32 s2, s2
	s_mul_f32 s2, s2, 0x5f7ffffc
	s_delay_alu instid0(SALU_CYCLE_3) | instskip(NEXT) | instid1(SALU_CYCLE_3)
	s_mul_f32 s16, s2, 0x2f800000
	s_trunc_f32 s16, s16
	s_delay_alu instid0(SALU_CYCLE_3) | instskip(SKIP_1) | instid1(SALU_CYCLE_2)
	s_fmamk_f32 s2, s16, 0xcf800000, s2
	s_cvt_u32_f32 s17, s16
	s_cvt_u32_f32 s16, s2
	s_delay_alu instid0(SALU_CYCLE_3) | instskip(NEXT) | instid1(SALU_CYCLE_1)
	s_mul_u64 s[28:29], s[26:27], s[16:17]
	s_mul_hi_u32 s35, s16, s29
	s_mul_i32 s34, s16, s29
	s_mul_hi_u32 s30, s16, s28
	s_mul_i32 s33, s17, s28
	s_add_nc_u64 s[34:35], s[30:31], s[34:35]
	s_mul_hi_u32 s2, s17, s28
	s_mul_hi_u32 s36, s17, s29
	s_mul_i32 s28, s17, s29
	s_add_co_u32 s29, s34, s33
	s_add_co_ci_u32 s30, s35, s2
	s_add_co_ci_u32 s29, s36, 0
	s_delay_alu instid0(SALU_CYCLE_1) | instskip(NEXT) | instid1(SALU_CYCLE_1)
	s_add_nc_u64 s[28:29], s[30:31], s[28:29]
	s_add_co_u32 s16, s16, s28
	s_cselect_b32 s2, -1, 0
	s_delay_alu instid0(SALU_CYCLE_1) | instskip(SKIP_1) | instid1(SALU_CYCLE_1)
	s_cmp_lg_u32 s2, 0
	s_add_co_ci_u32 s17, s17, s29
	s_mul_u64 s[26:27], s[26:27], s[16:17]
	s_delay_alu instid0(SALU_CYCLE_1)
	s_mul_hi_u32 s29, s16, s27
	s_mul_i32 s28, s16, s27
	s_mul_hi_u32 s30, s16, s26
	s_mul_i32 s33, s17, s26
	s_add_nc_u64 s[28:29], s[30:31], s[28:29]
	s_mul_hi_u32 s2, s17, s26
	s_mul_hi_u32 s34, s17, s27
	s_mul_i32 s26, s17, s27
	s_add_co_u32 s27, s28, s33
	s_add_co_ci_u32 s30, s29, s2
	s_add_co_ci_u32 s27, s34, 0
	s_delay_alu instid0(SALU_CYCLE_1) | instskip(NEXT) | instid1(SALU_CYCLE_1)
	s_add_nc_u64 s[26:27], s[30:31], s[26:27]
	s_add_co_u32 s2, s16, s26
	s_cselect_b32 s16, -1, 0
	v_nop
	v_mul_hi_u32 v12, v0, s2
	s_cmp_lg_u32 s16, 0
	s_add_co_ci_u32 s30, s17, s27
	s_mov_b64 s[16:17], 0xffffffff
	v_mul_u64_e32 v[4:5], s[30:31], v[4:5]
	s_and_b64 s[16:17], s[2:3], s[16:17]
	s_delay_alu instid0(SALU_CYCLE_1) | instskip(SKIP_1) | instid1(VALU_DEP_3)
	v_mul_u64_e32 v[10:11], s[16:17], v[8:9]
	v_mul_u64_e32 v[8:9], s[30:31], v[8:9]
	v_add_nc_u64_e32 v[4:5], v[12:13], v[4:5]
	s_delay_alu instid0(VALU_DEP_1) | instskip(NEXT) | instid1(VALU_DEP_2)
	v_add_co_u32 v3, vcc_lo, v4, v10
	v_add_co_ci_u32_e32 v6, vcc_lo, v5, v11, vcc_lo
	s_delay_alu instid0(VALU_DEP_4) | instskip(NEXT) | instid1(VALU_DEP_1)
	v_add_co_ci_u32_e32 v9, vcc_lo, 0, v9, vcc_lo
	v_add_nc_u64_e32 v[4:5], v[6:7], v[8:9]
	s_delay_alu instid0(VALU_DEP_1) | instskip(SKIP_1) | instid1(VALU_DEP_2)
	v_mul_u64_e32 v[6:7], s[20:21], v[4:5]
	v_add_nc_u64_e32 v[8:9], 2, v[4:5]
	v_sub_nc_u32_e32 v3, v1, v7
	s_delay_alu instid0(VALU_DEP_3) | instskip(NEXT) | instid1(VALU_DEP_1)
	v_sub_co_u32 v6, vcc_lo, v0, v6
	v_sub_co_ci_u32_e64 v12, null, v1, v7, vcc_lo
	s_delay_alu instid0(VALU_DEP_3) | instskip(NEXT) | instid1(VALU_DEP_3)
	v_subrev_co_ci_u32_e64 v3, null, s21, v3, vcc_lo
	v_sub_co_u32 v10, s2, v6, s20
	v_cmp_le_u32_e32 vcc_lo, s20, v6
	s_delay_alu instid0(VALU_DEP_3) | instskip(NEXT) | instid1(VALU_DEP_3)
	v_subrev_co_ci_u32_e64 v3, null, 0, v3, s2
	v_cmp_le_u32_e64 s2, s20, v10
	v_add_nc_u64_e32 v[6:7], 1, v[4:5]
	v_cndmask_b32_e64 v13, 0, -1, vcc_lo
	s_delay_alu instid0(VALU_DEP_4) | instskip(NEXT) | instid1(VALU_DEP_4)
	v_cmp_eq_u32_e32 vcc_lo, s21, v3
	v_cndmask_b32_e64 v10, 0, -1, s2
	v_cmp_le_u32_e64 s2, s21, v3
	s_delay_alu instid0(VALU_DEP_1) | instskip(SKIP_1) | instid1(VALU_DEP_2)
	v_cndmask_b32_e64 v11, 0, -1, s2
	v_cmp_eq_u32_e64 s2, s21, v12
	v_cndmask_b32_e32 v3, v11, v10, vcc_lo
	v_cmp_le_u32_e32 vcc_lo, s21, v12
	v_cndmask_b32_e64 v10, 0, -1, vcc_lo
	s_delay_alu instid0(VALU_DEP_3) | instskip(SKIP_1) | instid1(VALU_DEP_3)
	v_cmp_ne_u32_e32 vcc_lo, 0, v3
	v_cndmask_b32_e32 v7, v7, v9, vcc_lo
	v_cndmask_b32_e64 v3, v10, v13, s2
	v_cndmask_b32_e32 v6, v6, v8, vcc_lo
	s_delay_alu instid0(VALU_DEP_2) | instskip(NEXT) | instid1(VALU_DEP_2)
	v_cmp_ne_u32_e32 vcc_lo, 0, v3
	v_dual_cndmask_b32 v5, v5, v7 :: v_dual_cndmask_b32 v4, v4, v6
.LBB15_15:
	s_and_not1_saveexec_b32 s2, s3
	s_cbranch_execz .LBB15_17
; %bb.16:
	v_cvt_f32_u32_e32 v3, s20
	s_sub_co_i32 s3, 0, s20
	s_delay_alu instid0(VALU_DEP_1) | instskip(SKIP_1) | instid1(TRANS32_DEP_1)
	v_rcp_iflag_f32_e32 v3, v3
	v_nop
	v_mul_f32_e32 v3, 0x4f7ffffe, v3
	s_delay_alu instid0(VALU_DEP_1) | instskip(NEXT) | instid1(VALU_DEP_1)
	v_cvt_u32_f32_e32 v3, v3
	v_mul_lo_u32 v4, s3, v3
	s_delay_alu instid0(VALU_DEP_1) | instskip(NEXT) | instid1(VALU_DEP_1)
	v_mul_hi_u32 v4, v3, v4
	v_add_nc_u32_e32 v3, v3, v4
	s_delay_alu instid0(VALU_DEP_1) | instskip(NEXT) | instid1(VALU_DEP_1)
	v_mul_hi_u32 v3, v0, v3
	v_mul_lo_u32 v4, v3, s20
	s_delay_alu instid0(VALU_DEP_1) | instskip(NEXT) | instid1(VALU_DEP_1)
	v_dual_add_nc_u32 v5, 1, v3 :: v_dual_sub_nc_u32 v4, v0, v4
	v_subrev_nc_u32_e32 v6, s20, v4
	v_cmp_le_u32_e32 vcc_lo, s20, v4
	s_delay_alu instid0(VALU_DEP_2) | instskip(NEXT) | instid1(VALU_DEP_1)
	v_dual_cndmask_b32 v4, v4, v6 :: v_dual_cndmask_b32 v3, v3, v5
	v_cmp_le_u32_e32 vcc_lo, s20, v4
	s_delay_alu instid0(VALU_DEP_2) | instskip(NEXT) | instid1(VALU_DEP_1)
	v_add_nc_u32_e32 v5, 1, v3
	v_dual_cndmask_b32 v4, v3, v5 :: v_dual_mov_b32 v5, 0
.LBB15_17:
	s_or_b32 exec_lo, exec_lo, s2
	s_delay_alu instid0(VALU_DEP_1) | instskip(SKIP_1) | instid1(VALU_DEP_1)
	v_dual_mov_b32 v8, 0 :: v_dual_bitop2_b32 v9, s19, v5 bitop3:0x54
                                        ; implicit-def: $vgpr6_vgpr7
	s_mov_b32 s2, exec_lo
	v_cmpx_ne_u64_e32 0, v[8:9]
	s_xor_b32 s3, exec_lo, s2
	s_cbranch_execnz .LBB15_20
; %bb.18:
	s_and_not1_saveexec_b32 s2, s3
	s_cbranch_execnz .LBB15_21
.LBB15_19:
	s_or_b32 exec_lo, exec_lo, s2
	s_cmp_eq_u64 s[6:7], 0
	s_cbranch_scc0 .LBB15_22
	s_branch .LBB15_44
.LBB15_20:
	s_cvt_f32_u32 s2, s18
	s_cvt_f32_u32 s16, s19
	s_sub_nc_u64 s[26:27], 0, s[18:19]
	s_mov_b32 s31, 0
	v_dual_mov_b32 v6, v4 :: v_dual_mov_b32 v7, v8
	s_fmamk_f32 s2, s16, 0x4f800000, s2
	v_dual_mov_b32 v10, v5 :: v_dual_mov_b32 v11, v8
	v_dual_mov_b32 v15, v8 :: v_dual_mov_b32 v9, v8
	s_delay_alu instid0(SALU_CYCLE_1) | instskip(NEXT) | instid1(TRANS32_DEP_1)
	v_s_rcp_f32 s2, s2
	s_mul_f32 s2, s2, 0x5f7ffffc
	s_delay_alu instid0(SALU_CYCLE_3) | instskip(NEXT) | instid1(SALU_CYCLE_3)
	s_mul_f32 s16, s2, 0x2f800000
	s_trunc_f32 s16, s16
	s_delay_alu instid0(SALU_CYCLE_3) | instskip(SKIP_1) | instid1(SALU_CYCLE_2)
	s_fmamk_f32 s2, s16, 0xcf800000, s2
	s_cvt_u32_f32 s17, s16
	s_cvt_u32_f32 s16, s2
	s_delay_alu instid0(SALU_CYCLE_3) | instskip(NEXT) | instid1(SALU_CYCLE_1)
	s_mul_u64 s[28:29], s[26:27], s[16:17]
	s_mul_hi_u32 s35, s16, s29
	s_mul_i32 s34, s16, s29
	s_mul_hi_u32 s30, s16, s28
	s_mul_i32 s33, s17, s28
	s_add_nc_u64 s[34:35], s[30:31], s[34:35]
	s_mul_hi_u32 s2, s17, s28
	s_mul_hi_u32 s36, s17, s29
	s_mul_i32 s28, s17, s29
	s_add_co_u32 s29, s34, s33
	s_add_co_ci_u32 s30, s35, s2
	s_add_co_ci_u32 s29, s36, 0
	s_delay_alu instid0(SALU_CYCLE_1) | instskip(NEXT) | instid1(SALU_CYCLE_1)
	s_add_nc_u64 s[28:29], s[30:31], s[28:29]
	s_add_co_u32 s16, s16, s28
	s_cselect_b32 s2, -1, 0
	s_delay_alu instid0(SALU_CYCLE_1) | instskip(SKIP_1) | instid1(SALU_CYCLE_1)
	s_cmp_lg_u32 s2, 0
	s_add_co_ci_u32 s17, s17, s29
	s_mul_u64 s[26:27], s[26:27], s[16:17]
	s_delay_alu instid0(SALU_CYCLE_1)
	s_mul_hi_u32 s29, s16, s27
	s_mul_i32 s28, s16, s27
	s_mul_hi_u32 s30, s16, s26
	s_mul_i32 s33, s17, s26
	s_add_nc_u64 s[28:29], s[30:31], s[28:29]
	s_mul_hi_u32 s2, s17, s26
	s_mul_hi_u32 s34, s17, s27
	s_mul_i32 s26, s17, s27
	s_add_co_u32 s27, s28, s33
	s_add_co_ci_u32 s30, s29, s2
	s_add_co_ci_u32 s27, s34, 0
	s_delay_alu instid0(SALU_CYCLE_1) | instskip(NEXT) | instid1(SALU_CYCLE_1)
	s_add_nc_u64 s[26:27], s[30:31], s[26:27]
	s_add_co_u32 s2, s16, s26
	s_cselect_b32 s16, -1, 0
	v_nop
	v_mul_hi_u32 v14, v4, s2
	s_cmp_lg_u32 s16, 0
	s_add_co_ci_u32 s30, s17, s27
	s_mov_b64 s[16:17], 0xffffffff
	v_mul_u64_e32 v[6:7], s[30:31], v[6:7]
	s_and_b64 s[16:17], s[2:3], s[16:17]
	s_delay_alu instid0(SALU_CYCLE_1) | instskip(SKIP_1) | instid1(VALU_DEP_3)
	v_mul_u64_e32 v[12:13], s[16:17], v[10:11]
	v_mul_u64_e32 v[10:11], s[30:31], v[10:11]
	v_add_nc_u64_e32 v[6:7], v[14:15], v[6:7]
	s_delay_alu instid0(VALU_DEP_1) | instskip(NEXT) | instid1(VALU_DEP_2)
	v_add_co_u32 v3, vcc_lo, v6, v12
	v_add_co_ci_u32_e32 v8, vcc_lo, v7, v13, vcc_lo
	s_delay_alu instid0(VALU_DEP_4) | instskip(NEXT) | instid1(VALU_DEP_1)
	v_add_co_ci_u32_e32 v11, vcc_lo, 0, v11, vcc_lo
	v_add_nc_u64_e32 v[6:7], v[8:9], v[10:11]
	s_delay_alu instid0(VALU_DEP_1) | instskip(NEXT) | instid1(VALU_DEP_1)
	v_mul_u64_e32 v[6:7], s[18:19], v[6:7]
	v_sub_nc_u32_e32 v3, v5, v7
	s_delay_alu instid0(VALU_DEP_2) | instskip(NEXT) | instid1(VALU_DEP_1)
	v_sub_co_u32 v6, vcc_lo, v4, v6
	v_sub_co_ci_u32_e64 v5, null, v5, v7, vcc_lo
	s_delay_alu instid0(VALU_DEP_3) | instskip(NEXT) | instid1(VALU_DEP_3)
	v_subrev_co_ci_u32_e64 v3, null, s19, v3, vcc_lo
	v_sub_co_u32 v7, vcc_lo, v6, s18
	v_cmp_le_u32_e64 s2, s18, v6
	s_delay_alu instid0(VALU_DEP_3) | instskip(SKIP_1) | instid1(VALU_DEP_3)
	v_subrev_co_ci_u32_e64 v8, null, 0, v3, vcc_lo
	v_subrev_co_ci_u32_e64 v3, null, s19, v3, vcc_lo
	v_cndmask_b32_e64 v9, 0, -1, s2
	v_cmp_le_u32_e64 s2, s18, v7
	v_cmp_le_u32_e32 vcc_lo, s19, v5
	s_delay_alu instid0(VALU_DEP_2) | instskip(SKIP_3) | instid1(VALU_DEP_3)
	v_cndmask_b32_e64 v10, 0, -1, s2
	v_cmp_le_u32_e64 s2, s19, v8
	v_cndmask_b32_e64 v12, 0, -1, vcc_lo
	v_cmp_eq_u32_e32 vcc_lo, s19, v8
	v_cndmask_b32_e64 v11, 0, -1, s2
	s_delay_alu instid0(VALU_DEP_1) | instskip(SKIP_1) | instid1(VALU_DEP_1)
	v_cndmask_b32_e32 v8, v11, v10, vcc_lo
	v_sub_co_u32 v10, vcc_lo, v7, s18
	v_subrev_co_ci_u32_e64 v3, null, 0, v3, vcc_lo
	v_cmp_eq_u32_e32 vcc_lo, s19, v5
	v_cndmask_b32_e32 v3, v12, v9, vcc_lo
	v_cmp_ne_u32_e32 vcc_lo, 0, v8
	v_cndmask_b32_e32 v5, v7, v10, vcc_lo
	s_delay_alu instid0(VALU_DEP_3) | instskip(NEXT) | instid1(VALU_DEP_2)
	v_cmp_ne_u32_e32 vcc_lo, 0, v3
	v_cndmask_b32_e32 v6, v6, v5, vcc_lo
	s_and_not1_saveexec_b32 s2, s3
	s_cbranch_execz .LBB15_19
.LBB15_21:
	v_cvt_f32_u32_e32 v3, s18
	s_sub_co_i32 s3, 0, s18
	s_delay_alu instid0(VALU_DEP_1) | instskip(SKIP_1) | instid1(TRANS32_DEP_1)
	v_rcp_iflag_f32_e32 v3, v3
	v_nop
	v_mul_f32_e32 v3, 0x4f7ffffe, v3
	s_delay_alu instid0(VALU_DEP_1) | instskip(NEXT) | instid1(VALU_DEP_1)
	v_cvt_u32_f32_e32 v3, v3
	v_mul_lo_u32 v5, s3, v3
	s_delay_alu instid0(VALU_DEP_1) | instskip(NEXT) | instid1(VALU_DEP_1)
	v_mul_hi_u32 v5, v3, v5
	v_add_nc_u32_e32 v3, v3, v5
	s_delay_alu instid0(VALU_DEP_1) | instskip(NEXT) | instid1(VALU_DEP_1)
	v_mul_hi_u32 v3, v4, v3
	v_mul_lo_u32 v3, v3, s18
	s_delay_alu instid0(VALU_DEP_1) | instskip(NEXT) | instid1(VALU_DEP_1)
	v_sub_nc_u32_e32 v3, v4, v3
	v_subrev_nc_u32_e32 v5, s18, v3
	v_cmp_le_u32_e32 vcc_lo, s18, v3
	s_delay_alu instid0(VALU_DEP_2) | instskip(NEXT) | instid1(VALU_DEP_1)
	v_cndmask_b32_e32 v3, v3, v5, vcc_lo
	v_subrev_nc_u32_e32 v5, s18, v3
	v_cmp_le_u32_e32 vcc_lo, s18, v3
	s_delay_alu instid0(VALU_DEP_2)
	v_cndmask_b32_e32 v6, v3, v5, vcc_lo
	s_or_b32 exec_lo, exec_lo, s2
	s_cmp_eq_u64 s[6:7], 0
	s_cbranch_scc1 .LBB15_44
.LBB15_22:
	s_mul_u64 s[16:17], s[24:25], s[20:21]
                                        ; implicit-def: $vgpr10_vgpr11
	s_mov_b32 s2, exec_lo
	v_dual_mov_b32 v8, 0 :: v_dual_bitop2_b32 v9, s17, v1 bitop3:0x54
	s_delay_alu instid0(VALU_DEP_1)
	v_cmpx_ne_u64_e32 0, v[8:9]
	s_xor_b32 s3, exec_lo, s2
	s_cbranch_execz .LBB15_24
; %bb.23:
	s_ashr_i32 s18, s17, 31
	s_mov_b32 s35, 0
	s_mov_b32 s19, s18
	v_dual_mov_b32 v15, v8 :: v_dual_ashrrev_i32 v10, 31, v1
	s_add_nc_u64 s[24:25], s[16:17], s[18:19]
	v_dual_mov_b32 v23, v8 :: v_dual_mov_b32 v9, v8
	s_xor_b64 s[24:25], s[24:25], s[18:19]
	s_delay_alu instid0(VALU_DEP_2) | instskip(SKIP_3) | instid1(VALU_DEP_1)
	v_mov_b32_e32 v11, v10
	s_cvt_f32_u32 s2, s24
	s_cvt_f32_u32 s19, s25
	s_sub_nc_u64 s[28:29], 0, s[24:25]
	v_add_nc_u64_e32 v[12:13], v[0:1], v[10:11]
	s_delay_alu instid0(SALU_CYCLE_1) | instskip(SKIP_1) | instid1(SALU_CYCLE_2)
	s_fmamk_f32 s2, s19, 0x4f800000, s2
	v_mov_b32_e32 v17, v8
	v_s_rcp_f32 s2, s2
	s_delay_alu instid0(VALU_DEP_2) | instskip(NEXT) | instid1(VALU_DEP_3)
	v_xor_b32_e32 v14, v12, v10
	v_xor_b32_e32 v16, v13, v10
	;; [unrolled: 1-line block ×3, first 2 shown]
	s_delay_alu instid0(TRANS32_DEP_1) | instskip(NEXT) | instid1(SALU_CYCLE_3)
	s_mul_f32 s2, s2, 0x5f7ffffc
	s_mul_f32 s19, s2, 0x2f800000
	s_delay_alu instid0(SALU_CYCLE_3) | instskip(NEXT) | instid1(SALU_CYCLE_3)
	s_trunc_f32 s19, s19
	s_fmamk_f32 s2, s19, 0xcf800000, s2
	s_cvt_u32_f32 s27, s19
	s_delay_alu instid0(SALU_CYCLE_2) | instskip(NEXT) | instid1(SALU_CYCLE_3)
	s_cvt_u32_f32 s26, s2
	s_mul_u64 s[30:31], s[28:29], s[26:27]
	s_delay_alu instid0(SALU_CYCLE_1)
	s_mul_hi_u32 s37, s26, s31
	s_mul_i32 s36, s26, s31
	s_mul_hi_u32 s34, s26, s30
	s_mul_i32 s19, s27, s30
	s_add_nc_u64 s[36:37], s[34:35], s[36:37]
	s_mul_hi_u32 s2, s27, s30
	s_mul_hi_u32 s21, s27, s31
	s_add_co_u32 s19, s36, s19
	s_add_co_ci_u32 s34, s37, s2
	s_mul_i32 s30, s27, s31
	s_add_co_ci_u32 s31, s21, 0
	s_delay_alu instid0(SALU_CYCLE_1) | instskip(NEXT) | instid1(SALU_CYCLE_1)
	s_add_nc_u64 s[30:31], s[34:35], s[30:31]
	s_add_co_u32 s26, s26, s30
	s_cselect_b32 s2, -1, 0
	s_delay_alu instid0(SALU_CYCLE_1) | instskip(SKIP_1) | instid1(SALU_CYCLE_1)
	s_cmp_lg_u32 s2, 0
	s_add_co_ci_u32 s27, s27, s31
	s_mul_u64 s[28:29], s[28:29], s[26:27]
	s_delay_alu instid0(SALU_CYCLE_1)
	s_mul_hi_u32 s31, s26, s29
	s_mul_i32 s30, s26, s29
	s_mul_hi_u32 s34, s26, s28
	s_mul_i32 s19, s27, s28
	s_add_nc_u64 s[30:31], s[34:35], s[30:31]
	s_mul_hi_u32 s2, s27, s28
	s_mul_hi_u32 s21, s27, s29
	s_add_co_u32 s19, s30, s19
	s_add_co_ci_u32 s34, s31, s2
	s_mul_i32 s28, s27, s29
	s_add_co_ci_u32 s29, s21, 0
	s_delay_alu instid0(SALU_CYCLE_1) | instskip(NEXT) | instid1(SALU_CYCLE_1)
	s_add_nc_u64 s[28:29], s[34:35], s[28:29]
	s_add_co_u32 s2, s26, s28
	s_cselect_b32 s19, -1, 0
	v_mul_hi_u32 v22, v14, s2
	s_cmp_lg_u32 s19, 0
	s_add_co_ci_u32 s34, s27, s29
	s_mov_b64 s[26:27], 0xffffffff
	v_mul_u64_e32 v[18:19], s[34:35], v[14:15]
	s_and_b64 s[26:27], s[2:3], s[26:27]
	v_mul_u64_e32 v[20:21], s[34:35], v[16:17]
	v_mul_u64_e32 v[12:13], s[26:27], v[16:17]
	s_delay_alu instid0(VALU_DEP_3) | instskip(NEXT) | instid1(VALU_DEP_1)
	v_add_nc_u64_e32 v[18:19], v[22:23], v[18:19]
	v_add_co_u32 v3, vcc_lo, v18, v12
	s_delay_alu instid0(VALU_DEP_2) | instskip(SKIP_1) | instid1(VALU_DEP_1)
	v_add_co_ci_u32_e32 v8, vcc_lo, v19, v13, vcc_lo
	v_add_co_ci_u32_e32 v21, vcc_lo, 0, v21, vcc_lo
	v_add_nc_u64_e32 v[8:9], v[8:9], v[20:21]
	s_delay_alu instid0(VALU_DEP_1) | instskip(NEXT) | instid1(VALU_DEP_1)
	v_mul_u64_e32 v[12:13], s[24:25], v[8:9]
	v_sub_co_u32 v5, vcc_lo, v14, v12
	v_add_nc_u64_e32 v[14:15], 1, v[8:9]
	s_delay_alu instid0(VALU_DEP_3) | instskip(SKIP_1) | instid1(VALU_DEP_4)
	v_sub_nc_u32_e32 v3, v16, v13
	v_sub_co_ci_u32_e64 v11, null, v16, v13, vcc_lo
	v_sub_co_u32 v7, s2, v5, s24
	s_delay_alu instid0(VALU_DEP_3) | instskip(NEXT) | instid1(VALU_DEP_2)
	v_subrev_co_ci_u32_e64 v3, null, s25, v3, vcc_lo
	v_cmp_le_u32_e32 vcc_lo, s24, v7
	s_delay_alu instid0(VALU_DEP_2) | instskip(SKIP_1) | instid1(VALU_DEP_2)
	v_subrev_co_ci_u32_e64 v3, null, 0, v3, s2
	v_cndmask_b32_e64 v7, 0, -1, vcc_lo
	v_cmp_le_u32_e32 vcc_lo, s25, v3
	v_cndmask_b32_e64 v12, 0, -1, vcc_lo
	v_cmp_le_u32_e32 vcc_lo, s24, v5
	;; [unrolled: 2-line block ×3, first 2 shown]
	v_cndmask_b32_e64 v16, 0, -1, vcc_lo
	v_cmp_eq_u32_e32 vcc_lo, s25, v3
	v_cndmask_b32_e32 v3, v12, v7, vcc_lo
	v_cmp_eq_u32_e32 vcc_lo, s25, v11
	v_add_nc_u64_e32 v[12:13], 2, v[8:9]
	v_dual_mov_b32 v11, v10 :: v_dual_cndmask_b32 v5, v16, v5, vcc_lo
	s_delay_alu instid0(VALU_DEP_4) | instskip(NEXT) | instid1(VALU_DEP_2)
	v_cmp_ne_u32_e32 vcc_lo, 0, v3
	v_cmp_ne_u32_e64 s2, 0, v5
	s_delay_alu instid0(VALU_DEP_4) | instskip(NEXT) | instid1(VALU_DEP_1)
	v_dual_cndmask_b32 v3, v15, v13, vcc_lo :: v_dual_cndmask_b32 v5, v14, v12, vcc_lo
	v_dual_cndmask_b32 v3, v9, v3, s2 :: v_dual_cndmask_b32 v5, v8, v5, s2
	s_delay_alu instid0(VALU_DEP_1) | instskip(NEXT) | instid1(VALU_DEP_2)
	v_xor_b32_e32 v9, v3, v10
	v_xor_b32_e32 v8, v5, v10
	s_delay_alu instid0(VALU_DEP_1)
	v_sub_nc_u64_e32 v[10:11], v[8:9], v[10:11]
.LBB15_24:
	s_and_not1_saveexec_b32 s2, s3
	s_cbranch_execz .LBB15_26
; %bb.25:
	v_cvt_f32_u32_e32 v3, s16
	s_sub_co_i32 s3, 0, s16
	v_mov_b32_e32 v11, 0
	s_delay_alu instid0(VALU_DEP_2) | instskip(SKIP_1) | instid1(TRANS32_DEP_1)
	v_rcp_iflag_f32_e32 v3, v3
	v_nop
	v_mul_f32_e32 v3, 0x4f7ffffe, v3
	s_delay_alu instid0(VALU_DEP_1) | instskip(NEXT) | instid1(VALU_DEP_1)
	v_cvt_u32_f32_e32 v3, v3
	v_mul_lo_u32 v5, s3, v3
	s_delay_alu instid0(VALU_DEP_1) | instskip(NEXT) | instid1(VALU_DEP_1)
	v_mul_hi_u32 v5, v3, v5
	v_add_nc_u32_e32 v3, v3, v5
	s_delay_alu instid0(VALU_DEP_1) | instskip(NEXT) | instid1(VALU_DEP_1)
	v_mul_hi_u32 v3, v0, v3
	v_mul_lo_u32 v5, v3, s16
	s_delay_alu instid0(VALU_DEP_1) | instskip(NEXT) | instid1(VALU_DEP_1)
	v_sub_nc_u32_e32 v5, v0, v5
	v_subrev_nc_u32_e32 v8, s16, v5
	v_cmp_le_u32_e32 vcc_lo, s16, v5
	s_delay_alu instid0(VALU_DEP_2) | instskip(NEXT) | instid1(VALU_DEP_1)
	v_dual_add_nc_u32 v7, 1, v3 :: v_dual_cndmask_b32 v5, v5, v8, vcc_lo
	v_cndmask_b32_e32 v3, v3, v7, vcc_lo
	s_delay_alu instid0(VALU_DEP_2) | instskip(NEXT) | instid1(VALU_DEP_2)
	v_cmp_le_u32_e32 vcc_lo, s16, v5
	v_add_nc_u32_e32 v7, 1, v3
	s_delay_alu instid0(VALU_DEP_1)
	v_cndmask_b32_e32 v10, v3, v7, vcc_lo
.LBB15_26:
	s_or_b32 exec_lo, exec_lo, s2
	s_delay_alu instid0(VALU_DEP_1) | instskip(SKIP_1) | instid1(VALU_DEP_1)
	v_dual_mov_b32 v12, 0 :: v_dual_bitop2_b32 v13, s9, v11 bitop3:0x54
                                        ; implicit-def: $vgpr8_vgpr9
	s_mov_b32 s2, exec_lo
	v_cmpx_ne_u64_e32 0, v[12:13]
	s_xor_b32 s3, exec_lo, s2
	s_cbranch_execz .LBB15_28
; %bb.27:
	s_cvt_f32_u32 s2, s8
	s_cvt_f32_u32 s18, s9
	s_sub_nc_u64 s[24:25], 0, s[8:9]
	s_mov_b32 s29, 0
	v_dual_mov_b32 v8, v10 :: v_dual_mov_b32 v9, v12
	s_fmamk_f32 s2, s18, 0x4f800000, s2
	v_dual_mov_b32 v14, v11 :: v_dual_mov_b32 v15, v12
	v_dual_mov_b32 v19, v12 :: v_dual_mov_b32 v13, v12
	s_delay_alu instid0(SALU_CYCLE_1) | instskip(NEXT) | instid1(TRANS32_DEP_1)
	v_s_rcp_f32 s2, s2
	s_mul_f32 s2, s2, 0x5f7ffffc
	s_delay_alu instid0(SALU_CYCLE_3) | instskip(NEXT) | instid1(SALU_CYCLE_3)
	s_mul_f32 s18, s2, 0x2f800000
	s_trunc_f32 s18, s18
	s_delay_alu instid0(SALU_CYCLE_3) | instskip(SKIP_1) | instid1(SALU_CYCLE_2)
	s_fmamk_f32 s2, s18, 0xcf800000, s2
	s_cvt_u32_f32 s19, s18
	s_cvt_u32_f32 s18, s2
	s_delay_alu instid0(SALU_CYCLE_3) | instskip(NEXT) | instid1(SALU_CYCLE_1)
	s_mul_u64 s[26:27], s[24:25], s[18:19]
	s_mul_hi_u32 s31, s18, s27
	s_mul_i32 s30, s18, s27
	s_mul_hi_u32 s28, s18, s26
	s_mul_i32 s21, s19, s26
	s_add_nc_u64 s[30:31], s[28:29], s[30:31]
	s_mul_hi_u32 s2, s19, s26
	s_mul_hi_u32 s33, s19, s27
	s_add_co_u32 s21, s30, s21
	s_add_co_ci_u32 s28, s31, s2
	s_mul_i32 s26, s19, s27
	s_add_co_ci_u32 s27, s33, 0
	s_delay_alu instid0(SALU_CYCLE_1) | instskip(NEXT) | instid1(SALU_CYCLE_1)
	s_add_nc_u64 s[26:27], s[28:29], s[26:27]
	s_add_co_u32 s18, s18, s26
	s_cselect_b32 s2, -1, 0
	s_delay_alu instid0(SALU_CYCLE_1) | instskip(SKIP_1) | instid1(SALU_CYCLE_1)
	s_cmp_lg_u32 s2, 0
	s_add_co_ci_u32 s19, s19, s27
	s_mul_u64 s[24:25], s[24:25], s[18:19]
	s_delay_alu instid0(SALU_CYCLE_1)
	s_mul_hi_u32 s27, s18, s25
	s_mul_i32 s26, s18, s25
	s_mul_hi_u32 s28, s18, s24
	s_mul_i32 s21, s19, s24
	s_add_nc_u64 s[26:27], s[28:29], s[26:27]
	s_mul_hi_u32 s2, s19, s24
	s_mul_hi_u32 s30, s19, s25
	s_add_co_u32 s21, s26, s21
	s_add_co_ci_u32 s28, s27, s2
	s_mul_i32 s24, s19, s25
	s_add_co_ci_u32 s25, s30, 0
	s_delay_alu instid0(SALU_CYCLE_1) | instskip(NEXT) | instid1(SALU_CYCLE_1)
	s_add_nc_u64 s[24:25], s[28:29], s[24:25]
	s_add_co_u32 s2, s18, s24
	s_cselect_b32 s18, -1, 0
	v_nop
	v_mul_hi_u32 v18, v10, s2
	s_cmp_lg_u32 s18, 0
	s_add_co_ci_u32 s28, s19, s25
	s_mov_b64 s[18:19], 0xffffffff
	v_mul_u64_e32 v[8:9], s[28:29], v[8:9]
	s_and_b64 s[18:19], s[2:3], s[18:19]
	s_delay_alu instid0(SALU_CYCLE_1) | instskip(SKIP_1) | instid1(VALU_DEP_3)
	v_mul_u64_e32 v[16:17], s[18:19], v[14:15]
	v_mul_u64_e32 v[14:15], s[28:29], v[14:15]
	v_add_nc_u64_e32 v[8:9], v[18:19], v[8:9]
	s_delay_alu instid0(VALU_DEP_1) | instskip(NEXT) | instid1(VALU_DEP_2)
	v_add_co_u32 v3, vcc_lo, v8, v16
	v_add_co_ci_u32_e32 v12, vcc_lo, v9, v17, vcc_lo
	s_delay_alu instid0(VALU_DEP_4) | instskip(NEXT) | instid1(VALU_DEP_1)
	v_add_co_ci_u32_e32 v15, vcc_lo, 0, v15, vcc_lo
	v_add_nc_u64_e32 v[8:9], v[12:13], v[14:15]
	s_delay_alu instid0(VALU_DEP_1) | instskip(NEXT) | instid1(VALU_DEP_1)
	v_mul_u64_e32 v[8:9], s[8:9], v[8:9]
	v_sub_nc_u32_e32 v3, v11, v9
	s_delay_alu instid0(VALU_DEP_2) | instskip(NEXT) | instid1(VALU_DEP_1)
	v_sub_co_u32 v5, vcc_lo, v10, v8
	v_sub_co_ci_u32_e64 v7, null, v11, v9, vcc_lo
	s_delay_alu instid0(VALU_DEP_3) | instskip(NEXT) | instid1(VALU_DEP_3)
	v_subrev_co_ci_u32_e64 v3, null, s9, v3, vcc_lo
	v_sub_co_u32 v8, vcc_lo, v5, s8
	v_cmp_le_u32_e64 s2, s8, v5
	s_delay_alu instid0(VALU_DEP_3) | instskip(SKIP_1) | instid1(VALU_DEP_3)
	v_subrev_co_ci_u32_e64 v9, null, 0, v3, vcc_lo
	v_subrev_co_ci_u32_e64 v3, null, s9, v3, vcc_lo
	v_cndmask_b32_e64 v10, 0, -1, s2
	v_cmp_le_u32_e64 s2, s8, v8
	v_cmp_le_u32_e32 vcc_lo, s9, v7
	s_delay_alu instid0(VALU_DEP_2) | instskip(SKIP_3) | instid1(VALU_DEP_3)
	v_cndmask_b32_e64 v11, 0, -1, s2
	v_cmp_le_u32_e64 s2, s9, v9
	v_cndmask_b32_e64 v13, 0, -1, vcc_lo
	v_cmp_eq_u32_e32 vcc_lo, s9, v9
	v_cndmask_b32_e64 v12, 0, -1, s2
	s_delay_alu instid0(VALU_DEP_1) | instskip(SKIP_1) | instid1(VALU_DEP_1)
	v_cndmask_b32_e32 v9, v12, v11, vcc_lo
	v_sub_co_u32 v11, vcc_lo, v8, s8
	v_subrev_co_ci_u32_e64 v3, null, 0, v3, vcc_lo
	v_cmp_eq_u32_e32 vcc_lo, s9, v7
	v_cndmask_b32_e32 v3, v13, v10, vcc_lo
	v_cmp_ne_u32_e32 vcc_lo, 0, v9
	v_cndmask_b32_e32 v7, v8, v11, vcc_lo
	s_delay_alu instid0(VALU_DEP_3) | instskip(NEXT) | instid1(VALU_DEP_2)
	v_cmp_ne_u32_e32 vcc_lo, 0, v3
                                        ; implicit-def: $vgpr10_vgpr11
	v_cndmask_b32_e32 v8, v5, v7, vcc_lo
.LBB15_28:
	s_and_not1_saveexec_b32 s2, s3
	s_cbranch_execz .LBB15_30
; %bb.29:
	v_cvt_f32_u32_e32 v3, s8
	s_sub_co_i32 s3, 0, s8
	s_delay_alu instid0(VALU_DEP_1) | instskip(SKIP_1) | instid1(TRANS32_DEP_1)
	v_rcp_iflag_f32_e32 v3, v3
	v_nop
	v_mul_f32_e32 v3, 0x4f7ffffe, v3
	s_delay_alu instid0(VALU_DEP_1) | instskip(NEXT) | instid1(VALU_DEP_1)
	v_cvt_u32_f32_e32 v3, v3
	v_mul_lo_u32 v5, s3, v3
	s_delay_alu instid0(VALU_DEP_1) | instskip(NEXT) | instid1(VALU_DEP_1)
	v_mul_hi_u32 v5, v3, v5
	v_add_nc_u32_e32 v3, v3, v5
	s_delay_alu instid0(VALU_DEP_1) | instskip(NEXT) | instid1(VALU_DEP_1)
	v_mul_hi_u32 v3, v10, v3
	v_mul_lo_u32 v3, v3, s8
	s_delay_alu instid0(VALU_DEP_1) | instskip(NEXT) | instid1(VALU_DEP_1)
	v_sub_nc_u32_e32 v3, v10, v3
	v_subrev_nc_u32_e32 v5, s8, v3
	v_cmp_le_u32_e32 vcc_lo, s8, v3
	s_delay_alu instid0(VALU_DEP_2) | instskip(NEXT) | instid1(VALU_DEP_1)
	v_cndmask_b32_e32 v3, v3, v5, vcc_lo
	v_subrev_nc_u32_e32 v5, s8, v3
	v_cmp_le_u32_e32 vcc_lo, s8, v3
	s_delay_alu instid0(VALU_DEP_2)
	v_cndmask_b32_e32 v8, v3, v5, vcc_lo
.LBB15_30:
	s_or_b32 exec_lo, exec_lo, s2
	v_mul_lo_u32 v3, v4, s20
	s_load_b96 s[0:2], s[0:1], 0x50
	v_add_nc_u32_e32 v4, 1, v6
	v_cvt_f32_i32_e32 v6, v6
	s_mul_u64 s[18:19], s[14:15], s[12:13]
	s_delay_alu instid0(VALU_DEP_3) | instskip(SKIP_3) | instid1(VALU_DEP_4)
	v_dual_ashrrev_i32 v9, 31, v8 :: v_dual_sub_nc_u32 v3, v0, v3
	v_add_nc_u32_e32 v5, 1, v2
	v_cvt_f32_i32_e32 v4, v4
	v_cvt_f32_i32_e32 v2, v2
	v_add_nc_u32_e32 v7, 1, v3
	s_delay_alu instid0(VALU_DEP_4) | instskip(SKIP_1) | instid1(VALU_DEP_3)
	v_cvt_f32_i32_e32 v5, v5
	v_cvt_f32_i32_e32 v3, v3
	;; [unrolled: 1-line block ×3, first 2 shown]
	s_wait_kmcnt 0x0
	v_fma_f32 v4, s1, v4, -0.5
	v_fma_f32 v5, s0, v5, -0.5
	;; [unrolled: 1-line block ×6, first 2 shown]
	v_ceil_f32_e32 v4, v4
	v_ceil_f32_e32 v5, v5
	;; [unrolled: 1-line block ×6, first 2 shown]
	v_cvt_i32_f32_e32 v4, v4
	v_cvt_i32_f32_e32 v5, v5
	;; [unrolled: 1-line block ×6, first 2 shown]
	v_min_i32_e32 v19, s10, v5
	v_min_i32_e32 v20, s12, v4
	;; [unrolled: 1-line block ×6, first 2 shown]
	v_cmp_gt_i32_e64 s0, v19, v2
	v_cmp_gt_i32_e64 s1, v20, v6
	;; [unrolled: 1-line block ×3, first 2 shown]
	s_mul_u64 s[10:11], s[18:19], s[10:11]
	s_mul_u64 s[12:13], s[16:17], s[8:9]
	s_mov_b64 s[16:17], 0
	s_branch .LBB15_33
.LBB15_31:                              ;   in Loop: Header=BB15_33 Depth=1
	s_or_b32 exec_lo, exec_lo, s20
.LBB15_32:                              ;   in Loop: Header=BB15_33 Depth=1
	s_delay_alu instid0(SALU_CYCLE_1)
	s_or_b32 exec_lo, exec_lo, s3
	s_add_nc_u64 s[16:17], s[16:17], 1
	v_lshl_add_u64 v[4:5], v[0:1], 3, s[22:23]
	v_cmp_le_u64_e64 s3, s[6:7], s[16:17]
	v_add_nc_u64_e32 v[0:1], s[12:13], v[0:1]
	global_store_b64 v[4:5], v[2:3], off
	s_and_b32 vcc_lo, exec_lo, s3
	s_cbranch_vccnz .LBB15_44
.LBB15_33:                              ; =>This Loop Header: Depth=1
                                        ;     Child Loop BB15_37 Depth 2
                                        ;       Child Loop BB15_40 Depth 3
                                        ;         Child Loop BB15_42 Depth 4
	s_wait_xcnt 0x0
	v_mov_b64_e32 v[2:3], 0
	s_and_saveexec_b32 s3, s0
	s_cbranch_execz .LBB15_32
; %bb.34:                               ;   in Loop: Header=BB15_33 Depth=1
	v_mad_nc_u64_u32 v[2:3], s16, s8, v[8:9]
	s_mul_i32 s20, s17, s8
	s_mul_i32 s21, s16, s9
	v_mov_b32_e32 v6, v22
	s_delay_alu instid0(VALU_DEP_2) | instskip(SKIP_1) | instid1(VALU_DEP_1)
	v_add3_u32 v3, s21, s20, v3
	s_mov_b32 s20, 0
	v_mul_u64_e32 v[4:5], s[10:11], v[2:3]
	v_mov_b64_e32 v[2:3], 0
	s_delay_alu instid0(VALU_DEP_2)
	v_lshl_add_u64 v[4:5], v[4:5], 3, s[4:5]
	s_branch .LBB15_37
.LBB15_35:                              ;   in Loop: Header=BB15_37 Depth=2
	s_or_b32 exec_lo, exec_lo, s24
.LBB15_36:                              ;   in Loop: Header=BB15_37 Depth=2
	s_delay_alu instid0(SALU_CYCLE_1) | instskip(SKIP_1) | instid1(VALU_DEP_1)
	s_or_b32 exec_lo, exec_lo, s21
	v_add_nc_u32_e32 v6, 1, v6
	v_cmp_ge_i32_e32 vcc_lo, v6, v19
	s_or_b32 s20, vcc_lo, s20
	s_delay_alu instid0(SALU_CYCLE_1)
	s_and_not1_b32 exec_lo, exec_lo, s20
	s_cbranch_execz .LBB15_31
.LBB15_37:                              ;   Parent Loop BB15_33 Depth=1
                                        ; =>  This Loop Header: Depth=2
                                        ;       Child Loop BB15_40 Depth 3
                                        ;         Child Loop BB15_42 Depth 4
	s_and_saveexec_b32 s21, s1
	s_cbranch_execz .LBB15_36
; %bb.38:                               ;   in Loop: Header=BB15_37 Depth=2
	v_dual_mov_b32 v12, v18 :: v_dual_ashrrev_i32 v7, 31, v6
	s_mov_b32 s24, 0
	s_delay_alu instid0(VALU_DEP_1) | instskip(NEXT) | instid1(VALU_DEP_1)
	v_mul_u64_e32 v[10:11], s[18:19], v[6:7]
	v_lshl_add_u64 v[10:11], v[10:11], 3, v[4:5]
	s_branch .LBB15_40
.LBB15_39:                              ;   in Loop: Header=BB15_40 Depth=3
	s_or_b32 exec_lo, exec_lo, s25
	v_add_nc_u32_e32 v12, 1, v12
	s_delay_alu instid0(VALU_DEP_1) | instskip(SKIP_1) | instid1(SALU_CYCLE_1)
	v_cmp_ge_i32_e32 vcc_lo, v12, v20
	s_or_b32 s24, vcc_lo, s24
	s_and_not1_b32 exec_lo, exec_lo, s24
	s_cbranch_execz .LBB15_35
.LBB15_40:                              ;   Parent Loop BB15_33 Depth=1
                                        ;     Parent Loop BB15_37 Depth=2
                                        ; =>    This Loop Header: Depth=3
                                        ;         Child Loop BB15_42 Depth 4
	s_and_saveexec_b32 s25, s2
	s_cbranch_execz .LBB15_39
; %bb.41:                               ;   in Loop: Header=BB15_40 Depth=3
	v_dual_mov_b32 v16, v23 :: v_dual_ashrrev_i32 v13, 31, v12
	s_mov_b32 s26, 0
	s_delay_alu instid0(VALU_DEP_1) | instskip(NEXT) | instid1(VALU_DEP_1)
	v_mul_u64_e32 v[14:15], s[14:15], v[12:13]
	v_lshl_add_u64 v[14:15], v[14:15], 3, v[10:11]
.LBB15_42:                              ;   Parent Loop BB15_33 Depth=1
                                        ;     Parent Loop BB15_37 Depth=2
                                        ;       Parent Loop BB15_40 Depth=3
                                        ; =>      This Inner Loop Header: Depth=4
	s_delay_alu instid0(VALU_DEP_3) | instskip(NEXT) | instid1(VALU_DEP_1)
	v_ashrrev_i32_e32 v17, 31, v16
	v_lshl_add_u64 v[24:25], v[16:17], 3, v[14:15]
	v_add_nc_u32_e32 v16, 1, v16
	global_load_b64 v[24:25], v[24:25], off
	v_cmp_ge_i32_e32 vcc_lo, v16, v21
	s_or_b32 s26, vcc_lo, s26
	s_wait_loadcnt 0x0
	v_add_f64_e32 v[2:3], v[2:3], v[24:25]
	s_wait_xcnt 0x0
	s_and_not1_b32 exec_lo, exec_lo, s26
	s_cbranch_execnz .LBB15_42
; %bb.43:                               ;   in Loop: Header=BB15_40 Depth=3
	s_or_b32 exec_lo, exec_lo, s26
	s_branch .LBB15_39
.LBB15_44:
	s_endpgm
	.section	.rodata,"a",@progbits
	.p2align	6, 0x0
	.amdhsa_kernel _ZN2at6native12_GLOBAL__N_137upsample_nearest3d_backward_out_frameIddXadL_ZNS0_46nearest_neighbor_exact_bw_compute_source_indexEfiiEEEEvPKT_mmmmmmmmPS3_fff
		.amdhsa_group_segment_fixed_size 0
		.amdhsa_private_segment_fixed_size 0
		.amdhsa_kernarg_size 352
		.amdhsa_user_sgpr_count 2
		.amdhsa_user_sgpr_dispatch_ptr 0
		.amdhsa_user_sgpr_queue_ptr 0
		.amdhsa_user_sgpr_kernarg_segment_ptr 1
		.amdhsa_user_sgpr_dispatch_id 0
		.amdhsa_user_sgpr_kernarg_preload_length 0
		.amdhsa_user_sgpr_kernarg_preload_offset 0
		.amdhsa_user_sgpr_private_segment_size 0
		.amdhsa_wavefront_size32 1
		.amdhsa_uses_dynamic_stack 0
		.amdhsa_enable_private_segment 0
		.amdhsa_system_sgpr_workgroup_id_x 1
		.amdhsa_system_sgpr_workgroup_id_y 0
		.amdhsa_system_sgpr_workgroup_id_z 0
		.amdhsa_system_sgpr_workgroup_info 0
		.amdhsa_system_vgpr_workitem_id 0
		.amdhsa_next_free_vgpr 26
		.amdhsa_next_free_sgpr 39
		.amdhsa_named_barrier_count 0
		.amdhsa_reserve_vcc 1
		.amdhsa_float_round_mode_32 0
		.amdhsa_float_round_mode_16_64 0
		.amdhsa_float_denorm_mode_32 3
		.amdhsa_float_denorm_mode_16_64 3
		.amdhsa_fp16_overflow 0
		.amdhsa_memory_ordered 1
		.amdhsa_forward_progress 1
		.amdhsa_inst_pref_size 45
		.amdhsa_round_robin_scheduling 0
		.amdhsa_exception_fp_ieee_invalid_op 0
		.amdhsa_exception_fp_denorm_src 0
		.amdhsa_exception_fp_ieee_div_zero 0
		.amdhsa_exception_fp_ieee_overflow 0
		.amdhsa_exception_fp_ieee_underflow 0
		.amdhsa_exception_fp_ieee_inexact 0
		.amdhsa_exception_int_div_zero 0
	.end_amdhsa_kernel
	.section	.text._ZN2at6native12_GLOBAL__N_137upsample_nearest3d_backward_out_frameIddXadL_ZNS0_46nearest_neighbor_exact_bw_compute_source_indexEfiiEEEEvPKT_mmmmmmmmPS3_fff,"axG",@progbits,_ZN2at6native12_GLOBAL__N_137upsample_nearest3d_backward_out_frameIddXadL_ZNS0_46nearest_neighbor_exact_bw_compute_source_indexEfiiEEEEvPKT_mmmmmmmmPS3_fff,comdat
.Lfunc_end15:
	.size	_ZN2at6native12_GLOBAL__N_137upsample_nearest3d_backward_out_frameIddXadL_ZNS0_46nearest_neighbor_exact_bw_compute_source_indexEfiiEEEEvPKT_mmmmmmmmPS3_fff, .Lfunc_end15-_ZN2at6native12_GLOBAL__N_137upsample_nearest3d_backward_out_frameIddXadL_ZNS0_46nearest_neighbor_exact_bw_compute_source_indexEfiiEEEEvPKT_mmmmmmmmPS3_fff
                                        ; -- End function
	.set _ZN2at6native12_GLOBAL__N_137upsample_nearest3d_backward_out_frameIddXadL_ZNS0_46nearest_neighbor_exact_bw_compute_source_indexEfiiEEEEvPKT_mmmmmmmmPS3_fff.num_vgpr, 26
	.set _ZN2at6native12_GLOBAL__N_137upsample_nearest3d_backward_out_frameIddXadL_ZNS0_46nearest_neighbor_exact_bw_compute_source_indexEfiiEEEEvPKT_mmmmmmmmPS3_fff.num_agpr, 0
	.set _ZN2at6native12_GLOBAL__N_137upsample_nearest3d_backward_out_frameIddXadL_ZNS0_46nearest_neighbor_exact_bw_compute_source_indexEfiiEEEEvPKT_mmmmmmmmPS3_fff.numbered_sgpr, 39
	.set _ZN2at6native12_GLOBAL__N_137upsample_nearest3d_backward_out_frameIddXadL_ZNS0_46nearest_neighbor_exact_bw_compute_source_indexEfiiEEEEvPKT_mmmmmmmmPS3_fff.num_named_barrier, 0
	.set _ZN2at6native12_GLOBAL__N_137upsample_nearest3d_backward_out_frameIddXadL_ZNS0_46nearest_neighbor_exact_bw_compute_source_indexEfiiEEEEvPKT_mmmmmmmmPS3_fff.private_seg_size, 0
	.set _ZN2at6native12_GLOBAL__N_137upsample_nearest3d_backward_out_frameIddXadL_ZNS0_46nearest_neighbor_exact_bw_compute_source_indexEfiiEEEEvPKT_mmmmmmmmPS3_fff.uses_vcc, 1
	.set _ZN2at6native12_GLOBAL__N_137upsample_nearest3d_backward_out_frameIddXadL_ZNS0_46nearest_neighbor_exact_bw_compute_source_indexEfiiEEEEvPKT_mmmmmmmmPS3_fff.uses_flat_scratch, 0
	.set _ZN2at6native12_GLOBAL__N_137upsample_nearest3d_backward_out_frameIddXadL_ZNS0_46nearest_neighbor_exact_bw_compute_source_indexEfiiEEEEvPKT_mmmmmmmmPS3_fff.has_dyn_sized_stack, 0
	.set _ZN2at6native12_GLOBAL__N_137upsample_nearest3d_backward_out_frameIddXadL_ZNS0_46nearest_neighbor_exact_bw_compute_source_indexEfiiEEEEvPKT_mmmmmmmmPS3_fff.has_recursion, 0
	.set _ZN2at6native12_GLOBAL__N_137upsample_nearest3d_backward_out_frameIddXadL_ZNS0_46nearest_neighbor_exact_bw_compute_source_indexEfiiEEEEvPKT_mmmmmmmmPS3_fff.has_indirect_call, 0
	.section	.AMDGPU.csdata,"",@progbits
; Kernel info:
; codeLenInByte = 5688
; TotalNumSgprs: 41
; NumVgprs: 26
; ScratchSize: 0
; MemoryBound: 0
; FloatMode: 240
; IeeeMode: 1
; LDSByteSize: 0 bytes/workgroup (compile time only)
; SGPRBlocks: 0
; VGPRBlocks: 1
; NumSGPRsForWavesPerEU: 41
; NumVGPRsForWavesPerEU: 26
; NamedBarCnt: 0
; Occupancy: 16
; WaveLimiterHint : 0
; COMPUTE_PGM_RSRC2:SCRATCH_EN: 0
; COMPUTE_PGM_RSRC2:USER_SGPR: 2
; COMPUTE_PGM_RSRC2:TRAP_HANDLER: 0
; COMPUTE_PGM_RSRC2:TGID_X_EN: 1
; COMPUTE_PGM_RSRC2:TGID_Y_EN: 0
; COMPUTE_PGM_RSRC2:TGID_Z_EN: 0
; COMPUTE_PGM_RSRC2:TIDIG_COMP_CNT: 0
	.section	.text._ZN2at6native12_GLOBAL__N_137upsample_nearest3d_backward_out_frameIffXadL_ZNS0_46nearest_neighbor_exact_bw_compute_source_indexEfiiEEEEvPKT_mmmmmmmmPS3_fff,"axG",@progbits,_ZN2at6native12_GLOBAL__N_137upsample_nearest3d_backward_out_frameIffXadL_ZNS0_46nearest_neighbor_exact_bw_compute_source_indexEfiiEEEEvPKT_mmmmmmmmPS3_fff,comdat
	.globl	_ZN2at6native12_GLOBAL__N_137upsample_nearest3d_backward_out_frameIffXadL_ZNS0_46nearest_neighbor_exact_bw_compute_source_indexEfiiEEEEvPKT_mmmmmmmmPS3_fff ; -- Begin function _ZN2at6native12_GLOBAL__N_137upsample_nearest3d_backward_out_frameIffXadL_ZNS0_46nearest_neighbor_exact_bw_compute_source_indexEfiiEEEEvPKT_mmmmmmmmPS3_fff
	.p2align	8
	.type	_ZN2at6native12_GLOBAL__N_137upsample_nearest3d_backward_out_frameIffXadL_ZNS0_46nearest_neighbor_exact_bw_compute_source_indexEfiiEEEEvPKT_mmmmmmmmPS3_fff,@function
_ZN2at6native12_GLOBAL__N_137upsample_nearest3d_backward_out_frameIffXadL_ZNS0_46nearest_neighbor_exact_bw_compute_source_indexEfiiEEEEvPKT_mmmmmmmmPS3_fff: ; @_ZN2at6native12_GLOBAL__N_137upsample_nearest3d_backward_out_frameIffXadL_ZNS0_46nearest_neighbor_exact_bw_compute_source_indexEfiiEEEEvPKT_mmmmmmmmPS3_fff
; %bb.0:
	s_clause 0x2
	s_load_b32 s2, s[0:1], 0x6c
	s_load_b512 s[4:19], s[0:1], 0x0
	s_load_b128 s[20:23], s[0:1], 0x40
	s_bfe_u32 s3, ttmp6, 0x4000c
	v_mov_b32_e32 v2, 0
	s_add_co_i32 s3, s3, 1
	s_and_b32 s24, ttmp6, 15
	s_mul_i32 s3, ttmp9, s3
	s_getreg_b32 s25, hwreg(HW_REG_IB_STS2, 6, 4)
	v_mov_b32_e32 v1, v2
	s_add_co_i32 s24, s24, s3
	s_wait_kmcnt 0x0
	s_and_b32 s2, s2, 0xffff
	s_cmp_eq_u32 s25, 0
	s_cselect_b32 s3, ttmp9, s24
	s_mul_u64 s[24:25], s[18:19], s[16:17]
	v_mad_nc_u64_u32 v[0:1], s2, s3, v[0:1]
	s_mul_u64 s[2:3], s[24:25], s[8:9]
	s_delay_alu instid0(SALU_CYCLE_1)
	s_mul_u64 s[2:3], s[2:3], s[20:21]
	s_delay_alu instid0(VALU_DEP_1) | instid1(SALU_CYCLE_1)
	v_cmp_gt_u64_e32 vcc_lo, s[2:3], v[0:1]
	s_and_saveexec_b32 s2, vcc_lo
	s_cbranch_execz .LBB16_44
; %bb.1:
	v_or_b32_e32 v3, s19, v1
	s_delay_alu instid0(VALU_DEP_1) | instskip(SKIP_1) | instid1(SALU_CYCLE_1)
	v_cmp_ne_u64_e32 vcc_lo, 0, v[2:3]
                                        ; implicit-def: $vgpr2_vgpr3
	s_and_saveexec_b32 s2, vcc_lo
	s_xor_b32 s3, exec_lo, s2
	s_cbranch_execz .LBB16_3
; %bb.2:
	s_cvt_f32_u32 s2, s18
	s_cvt_f32_u32 s26, s19
	s_sub_nc_u64 s[28:29], 0, s[18:19]
	s_mov_b32 s35, 0
	v_dual_mov_b32 v3, 0 :: v_dual_mov_b32 v2, v0
	s_fmamk_f32 s2, s26, 0x4f800000, s2
	s_delay_alu instid0(SALU_CYCLE_3) | instskip(NEXT) | instid1(TRANS32_DEP_1)
	v_s_rcp_f32 s2, s2
	s_mul_f32 s2, s2, 0x5f7ffffc
	s_delay_alu instid0(SALU_CYCLE_3) | instskip(NEXT) | instid1(SALU_CYCLE_3)
	s_mul_f32 s26, s2, 0x2f800000
	s_trunc_f32 s26, s26
	s_delay_alu instid0(SALU_CYCLE_3) | instskip(SKIP_1) | instid1(SALU_CYCLE_2)
	s_fmamk_f32 s2, s26, 0xcf800000, s2
	s_cvt_u32_f32 s27, s26
	s_cvt_u32_f32 s26, s2
	s_delay_alu instid0(SALU_CYCLE_3) | instskip(NEXT) | instid1(SALU_CYCLE_1)
	s_mul_u64 s[30:31], s[28:29], s[26:27]
	s_mul_hi_u32 s37, s26, s31
	s_mul_i32 s36, s26, s31
	s_mul_hi_u32 s34, s26, s30
	s_mul_i32 s33, s27, s30
	s_add_nc_u64 s[36:37], s[34:35], s[36:37]
	s_mul_hi_u32 s2, s27, s30
	s_mul_hi_u32 s38, s27, s31
	s_mul_i32 s30, s27, s31
	s_add_co_u32 s31, s36, s33
	s_add_co_ci_u32 s34, s37, s2
	s_add_co_ci_u32 s31, s38, 0
	s_delay_alu instid0(SALU_CYCLE_1) | instskip(NEXT) | instid1(SALU_CYCLE_1)
	s_add_nc_u64 s[30:31], s[34:35], s[30:31]
	s_add_co_u32 s26, s26, s30
	s_cselect_b32 s2, -1, 0
	s_delay_alu instid0(SALU_CYCLE_1) | instskip(SKIP_1) | instid1(SALU_CYCLE_1)
	s_cmp_lg_u32 s2, 0
	s_add_co_ci_u32 s27, s27, s31
	s_mul_u64 s[28:29], s[28:29], s[26:27]
	s_delay_alu instid0(SALU_CYCLE_1)
	s_mul_hi_u32 s31, s26, s29
	s_mul_i32 s30, s26, s29
	s_mul_hi_u32 s34, s26, s28
	s_mul_i32 s33, s27, s28
	s_add_nc_u64 s[30:31], s[34:35], s[30:31]
	s_mul_hi_u32 s2, s27, s28
	s_mul_hi_u32 s36, s27, s29
	s_mul_i32 s28, s27, s29
	s_add_co_u32 s29, s30, s33
	s_add_co_ci_u32 s34, s31, s2
	s_add_co_ci_u32 s29, s36, 0
	s_delay_alu instid0(SALU_CYCLE_1) | instskip(NEXT) | instid1(SALU_CYCLE_1)
	s_add_nc_u64 s[28:29], s[34:35], s[28:29]
	s_add_co_u32 s2, s26, s28
	s_cselect_b32 s26, -1, 0
	s_delay_alu instid0(SALU_CYCLE_1)
	s_cmp_lg_u32 s26, 0
	s_add_co_ci_u32 s34, s27, s29
	s_mov_b64 s[26:27], 0xffffffff
	v_mul_u64_e32 v[4:5], s[34:35], v[2:3]
	v_mul_hi_u32 v2, v0, s2
	s_and_b64 s[26:27], s[2:3], s[26:27]
	s_delay_alu instid0(VALU_DEP_1) | instskip(SKIP_1) | instid1(VALU_DEP_1)
	v_add_nc_u64_e32 v[4:5], v[2:3], v[4:5]
	v_mov_b32_e32 v2, v1
	v_mul_u64_e32 v[6:7], s[26:27], v[2:3]
	v_mul_u64_e32 v[8:9], s[34:35], v[2:3]
	s_delay_alu instid0(VALU_DEP_2) | instskip(NEXT) | instid1(VALU_DEP_3)
	v_add_co_u32 v2, vcc_lo, v4, v6
	v_add_co_ci_u32_e32 v2, vcc_lo, v5, v7, vcc_lo
	s_delay_alu instid0(VALU_DEP_3) | instskip(NEXT) | instid1(VALU_DEP_1)
	v_add_co_ci_u32_e32 v9, vcc_lo, 0, v9, vcc_lo
	v_add_nc_u64_e32 v[2:3], v[2:3], v[8:9]
	s_delay_alu instid0(VALU_DEP_1) | instskip(NEXT) | instid1(VALU_DEP_1)
	v_mul_u64_e32 v[4:5], s[18:19], v[2:3]
	v_sub_nc_u32_e32 v6, v1, v5
	s_delay_alu instid0(VALU_DEP_2) | instskip(NEXT) | instid1(VALU_DEP_1)
	v_sub_co_u32 v4, vcc_lo, v0, v4
	v_sub_co_ci_u32_e64 v11, null, v1, v5, vcc_lo
	s_delay_alu instid0(VALU_DEP_3) | instskip(NEXT) | instid1(VALU_DEP_3)
	v_subrev_co_ci_u32_e64 v6, null, s19, v6, vcc_lo
	v_sub_co_u32 v8, s2, v4, s18
	v_cmp_le_u32_e32 vcc_lo, s18, v4
	s_delay_alu instid0(VALU_DEP_3) | instskip(NEXT) | instid1(VALU_DEP_3)
	v_subrev_co_ci_u32_e64 v9, null, 0, v6, s2
	v_cmp_le_u32_e64 s2, s18, v8
	v_add_nc_u64_e32 v[6:7], 2, v[2:3]
	v_cndmask_b32_e64 v12, 0, -1, vcc_lo
	s_delay_alu instid0(VALU_DEP_4) | instskip(SKIP_3) | instid1(VALU_DEP_1)
	v_cmp_eq_u32_e32 vcc_lo, s19, v9
	v_add_nc_u64_e32 v[4:5], 1, v[2:3]
	v_cndmask_b32_e64 v8, 0, -1, s2
	v_cmp_le_u32_e64 s2, s19, v9
	v_cndmask_b32_e64 v10, 0, -1, s2
	v_cmp_eq_u32_e64 s2, s19, v11
	s_delay_alu instid0(VALU_DEP_2) | instskip(SKIP_2) | instid1(VALU_DEP_3)
	v_cndmask_b32_e32 v8, v10, v8, vcc_lo
	v_cmp_le_u32_e32 vcc_lo, s19, v11
	v_cndmask_b32_e64 v9, 0, -1, vcc_lo
	v_cmp_ne_u32_e32 vcc_lo, 0, v8
	s_delay_alu instid0(VALU_DEP_2) | instskip(SKIP_1) | instid1(VALU_DEP_2)
	v_dual_cndmask_b32 v8, v9, v12, s2 :: v_dual_cndmask_b32 v4, v4, v6, vcc_lo
	v_cndmask_b32_e32 v5, v5, v7, vcc_lo
	v_cmp_ne_u32_e32 vcc_lo, 0, v8
	s_delay_alu instid0(VALU_DEP_2)
	v_dual_cndmask_b32 v3, v3, v5 :: v_dual_cndmask_b32 v2, v2, v4
.LBB16_3:
	s_and_not1_saveexec_b32 s2, s3
	s_cbranch_execz .LBB16_5
; %bb.4:
	v_cvt_f32_u32_e32 v2, s18
	s_sub_co_i32 s3, 0, s18
	s_delay_alu instid0(VALU_DEP_1) | instskip(SKIP_1) | instid1(TRANS32_DEP_1)
	v_rcp_iflag_f32_e32 v2, v2
	v_nop
	v_mul_f32_e32 v2, 0x4f7ffffe, v2
	s_delay_alu instid0(VALU_DEP_1) | instskip(NEXT) | instid1(VALU_DEP_1)
	v_cvt_u32_f32_e32 v2, v2
	v_mul_lo_u32 v3, s3, v2
	s_delay_alu instid0(VALU_DEP_1) | instskip(NEXT) | instid1(VALU_DEP_1)
	v_mul_hi_u32 v3, v2, v3
	v_add_nc_u32_e32 v2, v2, v3
	s_delay_alu instid0(VALU_DEP_1) | instskip(NEXT) | instid1(VALU_DEP_1)
	v_mul_hi_u32 v2, v0, v2
	v_mul_lo_u32 v3, v2, s18
	s_delay_alu instid0(VALU_DEP_1) | instskip(NEXT) | instid1(VALU_DEP_1)
	v_dual_add_nc_u32 v4, 1, v2 :: v_dual_sub_nc_u32 v3, v0, v3
	v_subrev_nc_u32_e32 v5, s18, v3
	v_cmp_le_u32_e32 vcc_lo, s18, v3
	s_delay_alu instid0(VALU_DEP_2) | instskip(NEXT) | instid1(VALU_DEP_1)
	v_dual_cndmask_b32 v3, v3, v5 :: v_dual_cndmask_b32 v2, v2, v4
	v_cmp_le_u32_e32 vcc_lo, s18, v3
	s_delay_alu instid0(VALU_DEP_2) | instskip(NEXT) | instid1(VALU_DEP_1)
	v_dual_mov_b32 v3, 0 :: v_dual_add_nc_u32 v4, 1, v2
	v_cndmask_b32_e32 v2, v2, v4, vcc_lo
.LBB16_5:
	s_or_b32 exec_lo, exec_lo, s2
	s_delay_alu instid0(VALU_DEP_1) | instskip(SKIP_1) | instid1(VALU_DEP_1)
	v_dual_mov_b32 v6, 0 :: v_dual_bitop2_b32 v7, s21, v3 bitop3:0x54
                                        ; implicit-def: $vgpr4_vgpr5
	s_mov_b32 s2, exec_lo
	v_cmpx_ne_u64_e32 0, v[6:7]
	s_xor_b32 s3, exec_lo, s2
	s_cbranch_execz .LBB16_7
; %bb.6:
	s_cvt_f32_u32 s2, s20
	s_cvt_f32_u32 s26, s21
	s_sub_nc_u64 s[28:29], 0, s[20:21]
	s_mov_b32 s35, 0
	v_dual_mov_b32 v4, v2 :: v_dual_mov_b32 v5, v6
	s_fmamk_f32 s2, s26, 0x4f800000, s2
	v_dual_mov_b32 v8, v3 :: v_dual_mov_b32 v9, v6
	v_dual_mov_b32 v13, v6 :: v_dual_mov_b32 v7, v6
	s_delay_alu instid0(SALU_CYCLE_1) | instskip(NEXT) | instid1(TRANS32_DEP_1)
	v_s_rcp_f32 s2, s2
	s_mul_f32 s2, s2, 0x5f7ffffc
	s_delay_alu instid0(SALU_CYCLE_3) | instskip(NEXT) | instid1(SALU_CYCLE_3)
	s_mul_f32 s26, s2, 0x2f800000
	s_trunc_f32 s26, s26
	s_delay_alu instid0(SALU_CYCLE_3) | instskip(SKIP_1) | instid1(SALU_CYCLE_2)
	s_fmamk_f32 s2, s26, 0xcf800000, s2
	s_cvt_u32_f32 s27, s26
	s_cvt_u32_f32 s26, s2
	s_delay_alu instid0(SALU_CYCLE_3) | instskip(NEXT) | instid1(SALU_CYCLE_1)
	s_mul_u64 s[30:31], s[28:29], s[26:27]
	s_mul_hi_u32 s37, s26, s31
	s_mul_i32 s36, s26, s31
	s_mul_hi_u32 s34, s26, s30
	s_mul_i32 s33, s27, s30
	s_add_nc_u64 s[36:37], s[34:35], s[36:37]
	s_mul_hi_u32 s2, s27, s30
	s_mul_hi_u32 s38, s27, s31
	s_mul_i32 s30, s27, s31
	s_add_co_u32 s31, s36, s33
	s_add_co_ci_u32 s34, s37, s2
	s_add_co_ci_u32 s31, s38, 0
	s_delay_alu instid0(SALU_CYCLE_1) | instskip(NEXT) | instid1(SALU_CYCLE_1)
	s_add_nc_u64 s[30:31], s[34:35], s[30:31]
	s_add_co_u32 s26, s26, s30
	s_cselect_b32 s2, -1, 0
	s_delay_alu instid0(SALU_CYCLE_1) | instskip(SKIP_1) | instid1(SALU_CYCLE_1)
	s_cmp_lg_u32 s2, 0
	s_add_co_ci_u32 s27, s27, s31
	s_mul_u64 s[28:29], s[28:29], s[26:27]
	s_delay_alu instid0(SALU_CYCLE_1)
	s_mul_hi_u32 s31, s26, s29
	s_mul_i32 s30, s26, s29
	s_mul_hi_u32 s34, s26, s28
	s_mul_i32 s33, s27, s28
	s_add_nc_u64 s[30:31], s[34:35], s[30:31]
	s_mul_hi_u32 s2, s27, s28
	s_mul_hi_u32 s36, s27, s29
	s_mul_i32 s28, s27, s29
	s_add_co_u32 s29, s30, s33
	s_add_co_ci_u32 s34, s31, s2
	s_add_co_ci_u32 s29, s36, 0
	s_delay_alu instid0(SALU_CYCLE_1) | instskip(NEXT) | instid1(SALU_CYCLE_1)
	s_add_nc_u64 s[28:29], s[34:35], s[28:29]
	s_add_co_u32 s2, s26, s28
	s_cselect_b32 s26, -1, 0
	v_nop
	v_mul_hi_u32 v12, v2, s2
	s_cmp_lg_u32 s26, 0
	s_add_co_ci_u32 s34, s27, s29
	s_mov_b64 s[26:27], 0xffffffff
	v_mul_u64_e32 v[4:5], s[34:35], v[4:5]
	s_and_b64 s[26:27], s[2:3], s[26:27]
	s_delay_alu instid0(SALU_CYCLE_1) | instskip(SKIP_1) | instid1(VALU_DEP_3)
	v_mul_u64_e32 v[10:11], s[26:27], v[8:9]
	v_mul_u64_e32 v[8:9], s[34:35], v[8:9]
	v_add_nc_u64_e32 v[4:5], v[12:13], v[4:5]
	s_delay_alu instid0(VALU_DEP_1) | instskip(NEXT) | instid1(VALU_DEP_2)
	v_add_co_u32 v4, vcc_lo, v4, v10
	v_add_co_ci_u32_e32 v6, vcc_lo, v5, v11, vcc_lo
	s_delay_alu instid0(VALU_DEP_4) | instskip(NEXT) | instid1(VALU_DEP_1)
	v_add_co_ci_u32_e32 v9, vcc_lo, 0, v9, vcc_lo
	v_add_nc_u64_e32 v[4:5], v[6:7], v[8:9]
	s_delay_alu instid0(VALU_DEP_1) | instskip(NEXT) | instid1(VALU_DEP_1)
	v_mul_u64_e32 v[6:7], s[20:21], v[4:5]
	v_sub_nc_u32_e32 v8, v3, v7
	s_delay_alu instid0(VALU_DEP_2) | instskip(NEXT) | instid1(VALU_DEP_1)
	v_sub_co_u32 v2, vcc_lo, v2, v6
	v_sub_co_ci_u32_e64 v7, null, v3, v7, vcc_lo
	s_delay_alu instid0(VALU_DEP_3) | instskip(NEXT) | instid1(VALU_DEP_3)
	v_subrev_co_ci_u32_e64 v6, null, s21, v8, vcc_lo
	v_sub_co_u32 v10, s2, v2, s20
	v_cmp_le_u32_e32 vcc_lo, s20, v2
	s_delay_alu instid0(VALU_DEP_3) | instskip(NEXT) | instid1(VALU_DEP_3)
	v_subrev_co_ci_u32_e64 v6, null, 0, v6, s2
	v_cmp_le_u32_e64 s2, s20, v10
	v_add_nc_u64_e32 v[8:9], 2, v[4:5]
	v_cndmask_b32_e64 v12, 0, -1, vcc_lo
	s_delay_alu instid0(VALU_DEP_4) | instskip(SKIP_3) | instid1(VALU_DEP_1)
	v_cmp_eq_u32_e32 vcc_lo, s21, v6
	v_add_nc_u64_e32 v[2:3], 1, v[4:5]
	v_cndmask_b32_e64 v10, 0, -1, s2
	v_cmp_le_u32_e64 s2, s21, v6
	v_cndmask_b32_e64 v11, 0, -1, s2
	v_cmp_eq_u32_e64 s2, s21, v7
	s_delay_alu instid0(VALU_DEP_2) | instskip(SKIP_2) | instid1(VALU_DEP_3)
	v_cndmask_b32_e32 v6, v11, v10, vcc_lo
	v_cmp_le_u32_e32 vcc_lo, s21, v7
	v_cndmask_b32_e64 v10, 0, -1, vcc_lo
	v_cmp_ne_u32_e32 vcc_lo, 0, v6
	s_delay_alu instid0(VALU_DEP_2) | instskip(SKIP_1) | instid1(VALU_DEP_2)
	v_cndmask_b32_e64 v6, v10, v12, s2
	v_dual_cndmask_b32 v2, v2, v8 :: v_dual_cndmask_b32 v3, v3, v9
	v_cmp_ne_u32_e32 vcc_lo, 0, v6
	s_delay_alu instid0(VALU_DEP_2)
	v_dual_cndmask_b32 v4, v4, v2 :: v_dual_cndmask_b32 v5, v5, v3
                                        ; implicit-def: $vgpr2_vgpr3
.LBB16_7:
	s_and_not1_saveexec_b32 s2, s3
	s_cbranch_execz .LBB16_9
; %bb.8:
	v_cvt_f32_u32_e32 v3, s20
	s_sub_co_i32 s3, 0, s20
	s_delay_alu instid0(VALU_DEP_1) | instskip(SKIP_1) | instid1(TRANS32_DEP_1)
	v_rcp_iflag_f32_e32 v3, v3
	v_nop
	v_mul_f32_e32 v3, 0x4f7ffffe, v3
	s_delay_alu instid0(VALU_DEP_1) | instskip(NEXT) | instid1(VALU_DEP_1)
	v_cvt_u32_f32_e32 v3, v3
	v_mul_lo_u32 v4, s3, v3
	s_delay_alu instid0(VALU_DEP_1) | instskip(NEXT) | instid1(VALU_DEP_1)
	v_mul_hi_u32 v4, v3, v4
	v_add_nc_u32_e32 v3, v3, v4
	s_delay_alu instid0(VALU_DEP_1) | instskip(NEXT) | instid1(VALU_DEP_1)
	v_mul_hi_u32 v3, v2, v3
	v_mul_lo_u32 v4, v3, s20
	s_delay_alu instid0(VALU_DEP_1) | instskip(NEXT) | instid1(VALU_DEP_1)
	v_dual_sub_nc_u32 v2, v2, v4 :: v_dual_add_nc_u32 v4, 1, v3
	v_subrev_nc_u32_e32 v5, s20, v2
	v_cmp_le_u32_e32 vcc_lo, s20, v2
	s_delay_alu instid0(VALU_DEP_2) | instskip(NEXT) | instid1(VALU_DEP_4)
	v_dual_cndmask_b32 v2, v2, v5 :: v_dual_mov_b32 v5, 0
	v_cndmask_b32_e32 v3, v3, v4, vcc_lo
	s_delay_alu instid0(VALU_DEP_2) | instskip(NEXT) | instid1(VALU_DEP_2)
	v_cmp_le_u32_e32 vcc_lo, s20, v2
	v_add_nc_u32_e32 v4, 1, v3
	s_delay_alu instid0(VALU_DEP_1)
	v_cndmask_b32_e32 v4, v3, v4, vcc_lo
.LBB16_9:
	s_or_b32 exec_lo, exec_lo, s2
	s_delay_alu instid0(VALU_DEP_1) | instskip(SKIP_1) | instid1(VALU_DEP_1)
	v_dual_mov_b32 v6, 0 :: v_dual_bitop2_b32 v7, s17, v5 bitop3:0x54
                                        ; implicit-def: $vgpr2_vgpr3
	s_mov_b32 s2, exec_lo
	v_cmpx_ne_u64_e32 0, v[6:7]
	s_xor_b32 s3, exec_lo, s2
	s_cbranch_execz .LBB16_11
; %bb.10:
	s_cvt_f32_u32 s2, s16
	s_cvt_f32_u32 s26, s17
	s_sub_nc_u64 s[28:29], 0, s[16:17]
	s_mov_b32 s35, 0
	v_dual_mov_b32 v2, v4 :: v_dual_mov_b32 v3, v6
	s_fmamk_f32 s2, s26, 0x4f800000, s2
	v_dual_mov_b32 v8, v5 :: v_dual_mov_b32 v9, v6
	v_dual_mov_b32 v13, v6 :: v_dual_mov_b32 v7, v6
	s_delay_alu instid0(SALU_CYCLE_1) | instskip(NEXT) | instid1(TRANS32_DEP_1)
	v_s_rcp_f32 s2, s2
	s_mul_f32 s2, s2, 0x5f7ffffc
	s_delay_alu instid0(SALU_CYCLE_3) | instskip(NEXT) | instid1(SALU_CYCLE_3)
	s_mul_f32 s26, s2, 0x2f800000
	s_trunc_f32 s26, s26
	s_delay_alu instid0(SALU_CYCLE_3) | instskip(SKIP_1) | instid1(SALU_CYCLE_2)
	s_fmamk_f32 s2, s26, 0xcf800000, s2
	s_cvt_u32_f32 s27, s26
	s_cvt_u32_f32 s26, s2
	s_delay_alu instid0(SALU_CYCLE_3) | instskip(NEXT) | instid1(SALU_CYCLE_1)
	s_mul_u64 s[30:31], s[28:29], s[26:27]
	s_mul_hi_u32 s37, s26, s31
	s_mul_i32 s36, s26, s31
	s_mul_hi_u32 s34, s26, s30
	s_mul_i32 s33, s27, s30
	s_add_nc_u64 s[36:37], s[34:35], s[36:37]
	s_mul_hi_u32 s2, s27, s30
	s_mul_hi_u32 s38, s27, s31
	s_mul_i32 s30, s27, s31
	s_add_co_u32 s31, s36, s33
	s_add_co_ci_u32 s34, s37, s2
	s_add_co_ci_u32 s31, s38, 0
	s_delay_alu instid0(SALU_CYCLE_1) | instskip(NEXT) | instid1(SALU_CYCLE_1)
	s_add_nc_u64 s[30:31], s[34:35], s[30:31]
	s_add_co_u32 s26, s26, s30
	s_cselect_b32 s2, -1, 0
	s_delay_alu instid0(SALU_CYCLE_1) | instskip(SKIP_1) | instid1(SALU_CYCLE_1)
	s_cmp_lg_u32 s2, 0
	s_add_co_ci_u32 s27, s27, s31
	s_mul_u64 s[28:29], s[28:29], s[26:27]
	s_delay_alu instid0(SALU_CYCLE_1)
	s_mul_hi_u32 s31, s26, s29
	s_mul_i32 s30, s26, s29
	s_mul_hi_u32 s34, s26, s28
	s_mul_i32 s33, s27, s28
	s_add_nc_u64 s[30:31], s[34:35], s[30:31]
	s_mul_hi_u32 s2, s27, s28
	s_mul_hi_u32 s36, s27, s29
	s_mul_i32 s28, s27, s29
	s_add_co_u32 s29, s30, s33
	s_add_co_ci_u32 s34, s31, s2
	s_add_co_ci_u32 s29, s36, 0
	s_delay_alu instid0(SALU_CYCLE_1) | instskip(NEXT) | instid1(SALU_CYCLE_1)
	s_add_nc_u64 s[28:29], s[34:35], s[28:29]
	s_add_co_u32 s2, s26, s28
	s_cselect_b32 s26, -1, 0
	v_nop
	v_mul_hi_u32 v12, v4, s2
	s_cmp_lg_u32 s26, 0
	s_add_co_ci_u32 s34, s27, s29
	s_mov_b64 s[26:27], 0xffffffff
	v_mul_u64_e32 v[2:3], s[34:35], v[2:3]
	s_and_b64 s[26:27], s[2:3], s[26:27]
	s_delay_alu instid0(SALU_CYCLE_1) | instskip(SKIP_1) | instid1(VALU_DEP_3)
	v_mul_u64_e32 v[10:11], s[26:27], v[8:9]
	v_mul_u64_e32 v[8:9], s[34:35], v[8:9]
	v_add_nc_u64_e32 v[2:3], v[12:13], v[2:3]
	s_delay_alu instid0(VALU_DEP_1) | instskip(NEXT) | instid1(VALU_DEP_2)
	v_add_co_u32 v2, vcc_lo, v2, v10
	v_add_co_ci_u32_e32 v6, vcc_lo, v3, v11, vcc_lo
	s_delay_alu instid0(VALU_DEP_4) | instskip(NEXT) | instid1(VALU_DEP_1)
	v_add_co_ci_u32_e32 v9, vcc_lo, 0, v9, vcc_lo
	v_add_nc_u64_e32 v[2:3], v[6:7], v[8:9]
	s_delay_alu instid0(VALU_DEP_1) | instskip(NEXT) | instid1(VALU_DEP_1)
	v_mul_u64_e32 v[2:3], s[16:17], v[2:3]
	v_sub_nc_u32_e32 v6, v5, v3
	s_delay_alu instid0(VALU_DEP_2) | instskip(NEXT) | instid1(VALU_DEP_1)
	v_sub_co_u32 v2, vcc_lo, v4, v2
	v_sub_co_ci_u32_e64 v3, null, v5, v3, vcc_lo
	s_delay_alu instid0(VALU_DEP_3) | instskip(NEXT) | instid1(VALU_DEP_3)
	v_subrev_co_ci_u32_e64 v4, null, s17, v6, vcc_lo
	v_sub_co_u32 v5, vcc_lo, v2, s16
	v_cmp_le_u32_e64 s2, s16, v2
	s_delay_alu instid0(VALU_DEP_3) | instskip(SKIP_1) | instid1(VALU_DEP_3)
	v_subrev_co_ci_u32_e64 v6, null, 0, v4, vcc_lo
	v_subrev_co_ci_u32_e64 v4, null, s17, v4, vcc_lo
	v_cndmask_b32_e64 v7, 0, -1, s2
	v_cmp_le_u32_e64 s2, s16, v5
	v_cmp_le_u32_e32 vcc_lo, s17, v3
	s_delay_alu instid0(VALU_DEP_2) | instskip(SKIP_3) | instid1(VALU_DEP_3)
	v_cndmask_b32_e64 v8, 0, -1, s2
	v_cmp_le_u32_e64 s2, s17, v6
	v_cndmask_b32_e64 v10, 0, -1, vcc_lo
	v_cmp_eq_u32_e32 vcc_lo, s17, v6
	v_cndmask_b32_e64 v9, 0, -1, s2
	s_delay_alu instid0(VALU_DEP_1) | instskip(SKIP_1) | instid1(VALU_DEP_1)
	v_cndmask_b32_e32 v6, v9, v8, vcc_lo
	v_sub_co_u32 v8, vcc_lo, v5, s16
	v_subrev_co_ci_u32_e64 v4, null, 0, v4, vcc_lo
	v_cmp_eq_u32_e32 vcc_lo, s17, v3
	v_cndmask_b32_e32 v3, v10, v7, vcc_lo
	v_cmp_ne_u32_e32 vcc_lo, 0, v6
	v_cndmask_b32_e32 v4, v5, v8, vcc_lo
	s_delay_alu instid0(VALU_DEP_3) | instskip(NEXT) | instid1(VALU_DEP_2)
	v_cmp_ne_u32_e32 vcc_lo, 0, v3
	v_cndmask_b32_e32 v2, v2, v4, vcc_lo
                                        ; implicit-def: $vgpr4_vgpr5
.LBB16_11:
	s_and_not1_saveexec_b32 s2, s3
	s_cbranch_execz .LBB16_13
; %bb.12:
	v_cvt_f32_u32_e32 v2, s16
	s_sub_co_i32 s3, 0, s16
	s_delay_alu instid0(VALU_DEP_1) | instskip(SKIP_1) | instid1(TRANS32_DEP_1)
	v_rcp_iflag_f32_e32 v2, v2
	v_nop
	v_mul_f32_e32 v2, 0x4f7ffffe, v2
	s_delay_alu instid0(VALU_DEP_1) | instskip(NEXT) | instid1(VALU_DEP_1)
	v_cvt_u32_f32_e32 v2, v2
	v_mul_lo_u32 v3, s3, v2
	s_delay_alu instid0(VALU_DEP_1) | instskip(NEXT) | instid1(VALU_DEP_1)
	v_mul_hi_u32 v3, v2, v3
	v_add_nc_u32_e32 v2, v2, v3
	s_delay_alu instid0(VALU_DEP_1) | instskip(NEXT) | instid1(VALU_DEP_1)
	v_mul_hi_u32 v2, v4, v2
	v_mul_lo_u32 v2, v2, s16
	s_delay_alu instid0(VALU_DEP_1) | instskip(NEXT) | instid1(VALU_DEP_1)
	v_sub_nc_u32_e32 v2, v4, v2
	v_subrev_nc_u32_e32 v3, s16, v2
	v_cmp_le_u32_e32 vcc_lo, s16, v2
	s_delay_alu instid0(VALU_DEP_2) | instskip(NEXT) | instid1(VALU_DEP_1)
	v_cndmask_b32_e32 v2, v2, v3, vcc_lo
	v_subrev_nc_u32_e32 v3, s16, v2
	v_cmp_le_u32_e32 vcc_lo, s16, v2
	s_delay_alu instid0(VALU_DEP_2)
	v_cndmask_b32_e32 v2, v2, v3, vcc_lo
.LBB16_13:
	s_or_b32 exec_lo, exec_lo, s2
	v_dual_mov_b32 v6, 0 :: v_dual_bitop2_b32 v7, s21, v1 bitop3:0x54
                                        ; implicit-def: $vgpr4_vgpr5
	s_mov_b32 s2, exec_lo
	s_delay_alu instid0(VALU_DEP_1)
	v_cmpx_ne_u64_e32 0, v[6:7]
	s_xor_b32 s3, exec_lo, s2
	s_cbranch_execz .LBB16_15
; %bb.14:
	s_cvt_f32_u32 s2, s20
	s_cvt_f32_u32 s16, s21
	s_sub_nc_u64 s[26:27], 0, s[20:21]
	s_mov_b32 s31, 0
	v_dual_mov_b32 v4, v0 :: v_dual_mov_b32 v5, v6
	s_fmamk_f32 s2, s16, 0x4f800000, s2
	v_dual_mov_b32 v8, v1 :: v_dual_mov_b32 v9, v6
	v_dual_mov_b32 v13, v6 :: v_dual_mov_b32 v7, v6
	s_delay_alu instid0(SALU_CYCLE_1) | instskip(NEXT) | instid1(TRANS32_DEP_1)
	v_s_rcp_f32 s2, s2
	s_mul_f32 s2, s2, 0x5f7ffffc
	s_delay_alu instid0(SALU_CYCLE_3) | instskip(NEXT) | instid1(SALU_CYCLE_3)
	s_mul_f32 s16, s2, 0x2f800000
	s_trunc_f32 s16, s16
	s_delay_alu instid0(SALU_CYCLE_3) | instskip(SKIP_1) | instid1(SALU_CYCLE_2)
	s_fmamk_f32 s2, s16, 0xcf800000, s2
	s_cvt_u32_f32 s17, s16
	s_cvt_u32_f32 s16, s2
	s_delay_alu instid0(SALU_CYCLE_3) | instskip(NEXT) | instid1(SALU_CYCLE_1)
	s_mul_u64 s[28:29], s[26:27], s[16:17]
	s_mul_hi_u32 s35, s16, s29
	s_mul_i32 s34, s16, s29
	s_mul_hi_u32 s30, s16, s28
	s_mul_i32 s33, s17, s28
	s_add_nc_u64 s[34:35], s[30:31], s[34:35]
	s_mul_hi_u32 s2, s17, s28
	s_mul_hi_u32 s36, s17, s29
	s_mul_i32 s28, s17, s29
	s_add_co_u32 s29, s34, s33
	s_add_co_ci_u32 s30, s35, s2
	s_add_co_ci_u32 s29, s36, 0
	s_delay_alu instid0(SALU_CYCLE_1) | instskip(NEXT) | instid1(SALU_CYCLE_1)
	s_add_nc_u64 s[28:29], s[30:31], s[28:29]
	s_add_co_u32 s16, s16, s28
	s_cselect_b32 s2, -1, 0
	s_delay_alu instid0(SALU_CYCLE_1) | instskip(SKIP_1) | instid1(SALU_CYCLE_1)
	s_cmp_lg_u32 s2, 0
	s_add_co_ci_u32 s17, s17, s29
	s_mul_u64 s[26:27], s[26:27], s[16:17]
	s_delay_alu instid0(SALU_CYCLE_1)
	s_mul_hi_u32 s29, s16, s27
	s_mul_i32 s28, s16, s27
	s_mul_hi_u32 s30, s16, s26
	s_mul_i32 s33, s17, s26
	s_add_nc_u64 s[28:29], s[30:31], s[28:29]
	s_mul_hi_u32 s2, s17, s26
	s_mul_hi_u32 s34, s17, s27
	s_mul_i32 s26, s17, s27
	s_add_co_u32 s27, s28, s33
	s_add_co_ci_u32 s30, s29, s2
	s_add_co_ci_u32 s27, s34, 0
	s_delay_alu instid0(SALU_CYCLE_1) | instskip(NEXT) | instid1(SALU_CYCLE_1)
	s_add_nc_u64 s[26:27], s[30:31], s[26:27]
	s_add_co_u32 s2, s16, s26
	s_cselect_b32 s16, -1, 0
	v_nop
	v_mul_hi_u32 v12, v0, s2
	s_cmp_lg_u32 s16, 0
	s_add_co_ci_u32 s30, s17, s27
	s_mov_b64 s[16:17], 0xffffffff
	v_mul_u64_e32 v[4:5], s[30:31], v[4:5]
	s_and_b64 s[16:17], s[2:3], s[16:17]
	s_delay_alu instid0(SALU_CYCLE_1) | instskip(SKIP_1) | instid1(VALU_DEP_3)
	v_mul_u64_e32 v[10:11], s[16:17], v[8:9]
	v_mul_u64_e32 v[8:9], s[30:31], v[8:9]
	v_add_nc_u64_e32 v[4:5], v[12:13], v[4:5]
	s_delay_alu instid0(VALU_DEP_1) | instskip(NEXT) | instid1(VALU_DEP_2)
	v_add_co_u32 v3, vcc_lo, v4, v10
	v_add_co_ci_u32_e32 v6, vcc_lo, v5, v11, vcc_lo
	s_delay_alu instid0(VALU_DEP_4) | instskip(NEXT) | instid1(VALU_DEP_1)
	v_add_co_ci_u32_e32 v9, vcc_lo, 0, v9, vcc_lo
	v_add_nc_u64_e32 v[4:5], v[6:7], v[8:9]
	s_delay_alu instid0(VALU_DEP_1) | instskip(SKIP_1) | instid1(VALU_DEP_2)
	v_mul_u64_e32 v[6:7], s[20:21], v[4:5]
	v_add_nc_u64_e32 v[8:9], 2, v[4:5]
	v_sub_nc_u32_e32 v3, v1, v7
	s_delay_alu instid0(VALU_DEP_3) | instskip(NEXT) | instid1(VALU_DEP_1)
	v_sub_co_u32 v6, vcc_lo, v0, v6
	v_sub_co_ci_u32_e64 v12, null, v1, v7, vcc_lo
	s_delay_alu instid0(VALU_DEP_3) | instskip(NEXT) | instid1(VALU_DEP_3)
	v_subrev_co_ci_u32_e64 v3, null, s21, v3, vcc_lo
	v_sub_co_u32 v10, s2, v6, s20
	v_cmp_le_u32_e32 vcc_lo, s20, v6
	s_delay_alu instid0(VALU_DEP_3) | instskip(NEXT) | instid1(VALU_DEP_3)
	v_subrev_co_ci_u32_e64 v3, null, 0, v3, s2
	v_cmp_le_u32_e64 s2, s20, v10
	v_add_nc_u64_e32 v[6:7], 1, v[4:5]
	v_cndmask_b32_e64 v13, 0, -1, vcc_lo
	s_delay_alu instid0(VALU_DEP_4) | instskip(NEXT) | instid1(VALU_DEP_4)
	v_cmp_eq_u32_e32 vcc_lo, s21, v3
	v_cndmask_b32_e64 v10, 0, -1, s2
	v_cmp_le_u32_e64 s2, s21, v3
	s_delay_alu instid0(VALU_DEP_1) | instskip(SKIP_1) | instid1(VALU_DEP_2)
	v_cndmask_b32_e64 v11, 0, -1, s2
	v_cmp_eq_u32_e64 s2, s21, v12
	v_cndmask_b32_e32 v3, v11, v10, vcc_lo
	v_cmp_le_u32_e32 vcc_lo, s21, v12
	v_cndmask_b32_e64 v10, 0, -1, vcc_lo
	s_delay_alu instid0(VALU_DEP_3) | instskip(SKIP_1) | instid1(VALU_DEP_3)
	v_cmp_ne_u32_e32 vcc_lo, 0, v3
	v_cndmask_b32_e32 v7, v7, v9, vcc_lo
	v_cndmask_b32_e64 v3, v10, v13, s2
	v_cndmask_b32_e32 v6, v6, v8, vcc_lo
	s_delay_alu instid0(VALU_DEP_2) | instskip(NEXT) | instid1(VALU_DEP_2)
	v_cmp_ne_u32_e32 vcc_lo, 0, v3
	v_dual_cndmask_b32 v5, v5, v7 :: v_dual_cndmask_b32 v4, v4, v6
.LBB16_15:
	s_and_not1_saveexec_b32 s2, s3
	s_cbranch_execz .LBB16_17
; %bb.16:
	v_cvt_f32_u32_e32 v3, s20
	s_sub_co_i32 s3, 0, s20
	s_delay_alu instid0(VALU_DEP_1) | instskip(SKIP_1) | instid1(TRANS32_DEP_1)
	v_rcp_iflag_f32_e32 v3, v3
	v_nop
	v_mul_f32_e32 v3, 0x4f7ffffe, v3
	s_delay_alu instid0(VALU_DEP_1) | instskip(NEXT) | instid1(VALU_DEP_1)
	v_cvt_u32_f32_e32 v3, v3
	v_mul_lo_u32 v4, s3, v3
	s_delay_alu instid0(VALU_DEP_1) | instskip(NEXT) | instid1(VALU_DEP_1)
	v_mul_hi_u32 v4, v3, v4
	v_add_nc_u32_e32 v3, v3, v4
	s_delay_alu instid0(VALU_DEP_1) | instskip(NEXT) | instid1(VALU_DEP_1)
	v_mul_hi_u32 v3, v0, v3
	v_mul_lo_u32 v4, v3, s20
	s_delay_alu instid0(VALU_DEP_1) | instskip(NEXT) | instid1(VALU_DEP_1)
	v_dual_add_nc_u32 v5, 1, v3 :: v_dual_sub_nc_u32 v4, v0, v4
	v_subrev_nc_u32_e32 v6, s20, v4
	v_cmp_le_u32_e32 vcc_lo, s20, v4
	s_delay_alu instid0(VALU_DEP_2) | instskip(NEXT) | instid1(VALU_DEP_1)
	v_dual_cndmask_b32 v4, v4, v6 :: v_dual_cndmask_b32 v3, v3, v5
	v_cmp_le_u32_e32 vcc_lo, s20, v4
	s_delay_alu instid0(VALU_DEP_2) | instskip(NEXT) | instid1(VALU_DEP_1)
	v_add_nc_u32_e32 v5, 1, v3
	v_dual_cndmask_b32 v4, v3, v5 :: v_dual_mov_b32 v5, 0
.LBB16_17:
	s_or_b32 exec_lo, exec_lo, s2
	s_delay_alu instid0(VALU_DEP_1) | instskip(SKIP_1) | instid1(VALU_DEP_1)
	v_dual_mov_b32 v8, 0 :: v_dual_bitop2_b32 v9, s19, v5 bitop3:0x54
                                        ; implicit-def: $vgpr6_vgpr7
	s_mov_b32 s2, exec_lo
	v_cmpx_ne_u64_e32 0, v[8:9]
	s_xor_b32 s3, exec_lo, s2
	s_cbranch_execnz .LBB16_20
; %bb.18:
	s_and_not1_saveexec_b32 s2, s3
	s_cbranch_execnz .LBB16_21
.LBB16_19:
	s_or_b32 exec_lo, exec_lo, s2
	s_cmp_eq_u64 s[6:7], 0
	s_cbranch_scc0 .LBB16_22
	s_branch .LBB16_44
.LBB16_20:
	s_cvt_f32_u32 s2, s18
	s_cvt_f32_u32 s16, s19
	s_sub_nc_u64 s[26:27], 0, s[18:19]
	s_mov_b32 s31, 0
	v_dual_mov_b32 v6, v4 :: v_dual_mov_b32 v7, v8
	s_fmamk_f32 s2, s16, 0x4f800000, s2
	v_dual_mov_b32 v10, v5 :: v_dual_mov_b32 v11, v8
	v_dual_mov_b32 v15, v8 :: v_dual_mov_b32 v9, v8
	s_delay_alu instid0(SALU_CYCLE_1) | instskip(NEXT) | instid1(TRANS32_DEP_1)
	v_s_rcp_f32 s2, s2
	s_mul_f32 s2, s2, 0x5f7ffffc
	s_delay_alu instid0(SALU_CYCLE_3) | instskip(NEXT) | instid1(SALU_CYCLE_3)
	s_mul_f32 s16, s2, 0x2f800000
	s_trunc_f32 s16, s16
	s_delay_alu instid0(SALU_CYCLE_3) | instskip(SKIP_1) | instid1(SALU_CYCLE_2)
	s_fmamk_f32 s2, s16, 0xcf800000, s2
	s_cvt_u32_f32 s17, s16
	s_cvt_u32_f32 s16, s2
	s_delay_alu instid0(SALU_CYCLE_3) | instskip(NEXT) | instid1(SALU_CYCLE_1)
	s_mul_u64 s[28:29], s[26:27], s[16:17]
	s_mul_hi_u32 s35, s16, s29
	s_mul_i32 s34, s16, s29
	s_mul_hi_u32 s30, s16, s28
	s_mul_i32 s33, s17, s28
	s_add_nc_u64 s[34:35], s[30:31], s[34:35]
	s_mul_hi_u32 s2, s17, s28
	s_mul_hi_u32 s36, s17, s29
	s_mul_i32 s28, s17, s29
	s_add_co_u32 s29, s34, s33
	s_add_co_ci_u32 s30, s35, s2
	s_add_co_ci_u32 s29, s36, 0
	s_delay_alu instid0(SALU_CYCLE_1) | instskip(NEXT) | instid1(SALU_CYCLE_1)
	s_add_nc_u64 s[28:29], s[30:31], s[28:29]
	s_add_co_u32 s16, s16, s28
	s_cselect_b32 s2, -1, 0
	s_delay_alu instid0(SALU_CYCLE_1) | instskip(SKIP_1) | instid1(SALU_CYCLE_1)
	s_cmp_lg_u32 s2, 0
	s_add_co_ci_u32 s17, s17, s29
	s_mul_u64 s[26:27], s[26:27], s[16:17]
	s_delay_alu instid0(SALU_CYCLE_1)
	s_mul_hi_u32 s29, s16, s27
	s_mul_i32 s28, s16, s27
	s_mul_hi_u32 s30, s16, s26
	s_mul_i32 s33, s17, s26
	s_add_nc_u64 s[28:29], s[30:31], s[28:29]
	s_mul_hi_u32 s2, s17, s26
	s_mul_hi_u32 s34, s17, s27
	s_mul_i32 s26, s17, s27
	s_add_co_u32 s27, s28, s33
	s_add_co_ci_u32 s30, s29, s2
	s_add_co_ci_u32 s27, s34, 0
	s_delay_alu instid0(SALU_CYCLE_1) | instskip(NEXT) | instid1(SALU_CYCLE_1)
	s_add_nc_u64 s[26:27], s[30:31], s[26:27]
	s_add_co_u32 s2, s16, s26
	s_cselect_b32 s16, -1, 0
	v_nop
	v_mul_hi_u32 v14, v4, s2
	s_cmp_lg_u32 s16, 0
	s_add_co_ci_u32 s30, s17, s27
	s_mov_b64 s[16:17], 0xffffffff
	v_mul_u64_e32 v[6:7], s[30:31], v[6:7]
	s_and_b64 s[16:17], s[2:3], s[16:17]
	s_delay_alu instid0(SALU_CYCLE_1) | instskip(SKIP_1) | instid1(VALU_DEP_3)
	v_mul_u64_e32 v[12:13], s[16:17], v[10:11]
	v_mul_u64_e32 v[10:11], s[30:31], v[10:11]
	v_add_nc_u64_e32 v[6:7], v[14:15], v[6:7]
	s_delay_alu instid0(VALU_DEP_1) | instskip(NEXT) | instid1(VALU_DEP_2)
	v_add_co_u32 v3, vcc_lo, v6, v12
	v_add_co_ci_u32_e32 v8, vcc_lo, v7, v13, vcc_lo
	s_delay_alu instid0(VALU_DEP_4) | instskip(NEXT) | instid1(VALU_DEP_1)
	v_add_co_ci_u32_e32 v11, vcc_lo, 0, v11, vcc_lo
	v_add_nc_u64_e32 v[6:7], v[8:9], v[10:11]
	s_delay_alu instid0(VALU_DEP_1) | instskip(NEXT) | instid1(VALU_DEP_1)
	v_mul_u64_e32 v[6:7], s[18:19], v[6:7]
	v_sub_nc_u32_e32 v3, v5, v7
	s_delay_alu instid0(VALU_DEP_2) | instskip(NEXT) | instid1(VALU_DEP_1)
	v_sub_co_u32 v6, vcc_lo, v4, v6
	v_sub_co_ci_u32_e64 v5, null, v5, v7, vcc_lo
	s_delay_alu instid0(VALU_DEP_3) | instskip(NEXT) | instid1(VALU_DEP_3)
	v_subrev_co_ci_u32_e64 v3, null, s19, v3, vcc_lo
	v_sub_co_u32 v7, vcc_lo, v6, s18
	v_cmp_le_u32_e64 s2, s18, v6
	s_delay_alu instid0(VALU_DEP_3) | instskip(SKIP_1) | instid1(VALU_DEP_3)
	v_subrev_co_ci_u32_e64 v8, null, 0, v3, vcc_lo
	v_subrev_co_ci_u32_e64 v3, null, s19, v3, vcc_lo
	v_cndmask_b32_e64 v9, 0, -1, s2
	v_cmp_le_u32_e64 s2, s18, v7
	v_cmp_le_u32_e32 vcc_lo, s19, v5
	s_delay_alu instid0(VALU_DEP_2) | instskip(SKIP_3) | instid1(VALU_DEP_3)
	v_cndmask_b32_e64 v10, 0, -1, s2
	v_cmp_le_u32_e64 s2, s19, v8
	v_cndmask_b32_e64 v12, 0, -1, vcc_lo
	v_cmp_eq_u32_e32 vcc_lo, s19, v8
	v_cndmask_b32_e64 v11, 0, -1, s2
	s_delay_alu instid0(VALU_DEP_1) | instskip(SKIP_1) | instid1(VALU_DEP_1)
	v_cndmask_b32_e32 v8, v11, v10, vcc_lo
	v_sub_co_u32 v10, vcc_lo, v7, s18
	v_subrev_co_ci_u32_e64 v3, null, 0, v3, vcc_lo
	v_cmp_eq_u32_e32 vcc_lo, s19, v5
	v_cndmask_b32_e32 v3, v12, v9, vcc_lo
	v_cmp_ne_u32_e32 vcc_lo, 0, v8
	v_cndmask_b32_e32 v5, v7, v10, vcc_lo
	s_delay_alu instid0(VALU_DEP_3) | instskip(NEXT) | instid1(VALU_DEP_2)
	v_cmp_ne_u32_e32 vcc_lo, 0, v3
	v_cndmask_b32_e32 v6, v6, v5, vcc_lo
	s_and_not1_saveexec_b32 s2, s3
	s_cbranch_execz .LBB16_19
.LBB16_21:
	v_cvt_f32_u32_e32 v3, s18
	s_sub_co_i32 s3, 0, s18
	s_delay_alu instid0(VALU_DEP_1) | instskip(SKIP_1) | instid1(TRANS32_DEP_1)
	v_rcp_iflag_f32_e32 v3, v3
	v_nop
	v_mul_f32_e32 v3, 0x4f7ffffe, v3
	s_delay_alu instid0(VALU_DEP_1) | instskip(NEXT) | instid1(VALU_DEP_1)
	v_cvt_u32_f32_e32 v3, v3
	v_mul_lo_u32 v5, s3, v3
	s_delay_alu instid0(VALU_DEP_1) | instskip(NEXT) | instid1(VALU_DEP_1)
	v_mul_hi_u32 v5, v3, v5
	v_add_nc_u32_e32 v3, v3, v5
	s_delay_alu instid0(VALU_DEP_1) | instskip(NEXT) | instid1(VALU_DEP_1)
	v_mul_hi_u32 v3, v4, v3
	v_mul_lo_u32 v3, v3, s18
	s_delay_alu instid0(VALU_DEP_1) | instskip(NEXT) | instid1(VALU_DEP_1)
	v_sub_nc_u32_e32 v3, v4, v3
	v_subrev_nc_u32_e32 v5, s18, v3
	v_cmp_le_u32_e32 vcc_lo, s18, v3
	s_delay_alu instid0(VALU_DEP_2) | instskip(NEXT) | instid1(VALU_DEP_1)
	v_cndmask_b32_e32 v3, v3, v5, vcc_lo
	v_subrev_nc_u32_e32 v5, s18, v3
	v_cmp_le_u32_e32 vcc_lo, s18, v3
	s_delay_alu instid0(VALU_DEP_2)
	v_cndmask_b32_e32 v6, v3, v5, vcc_lo
	s_or_b32 exec_lo, exec_lo, s2
	s_cmp_eq_u64 s[6:7], 0
	s_cbranch_scc1 .LBB16_44
.LBB16_22:
	s_mul_u64 s[16:17], s[24:25], s[20:21]
                                        ; implicit-def: $vgpr10_vgpr11
	s_mov_b32 s2, exec_lo
	v_dual_mov_b32 v8, 0 :: v_dual_bitop2_b32 v9, s17, v1 bitop3:0x54
	s_delay_alu instid0(VALU_DEP_1)
	v_cmpx_ne_u64_e32 0, v[8:9]
	s_xor_b32 s3, exec_lo, s2
	s_cbranch_execz .LBB16_24
; %bb.23:
	s_ashr_i32 s18, s17, 31
	s_mov_b32 s35, 0
	s_mov_b32 s19, s18
	v_dual_mov_b32 v15, v8 :: v_dual_ashrrev_i32 v10, 31, v1
	s_add_nc_u64 s[24:25], s[16:17], s[18:19]
	v_dual_mov_b32 v23, v8 :: v_dual_mov_b32 v9, v8
	s_xor_b64 s[24:25], s[24:25], s[18:19]
	s_delay_alu instid0(VALU_DEP_2) | instskip(SKIP_3) | instid1(VALU_DEP_1)
	v_mov_b32_e32 v11, v10
	s_cvt_f32_u32 s2, s24
	s_cvt_f32_u32 s19, s25
	s_sub_nc_u64 s[28:29], 0, s[24:25]
	v_add_nc_u64_e32 v[12:13], v[0:1], v[10:11]
	s_delay_alu instid0(SALU_CYCLE_1) | instskip(SKIP_1) | instid1(SALU_CYCLE_2)
	s_fmamk_f32 s2, s19, 0x4f800000, s2
	v_mov_b32_e32 v17, v8
	v_s_rcp_f32 s2, s2
	s_delay_alu instid0(VALU_DEP_2) | instskip(NEXT) | instid1(VALU_DEP_3)
	v_xor_b32_e32 v14, v12, v10
	v_xor_b32_e32 v16, v13, v10
	;; [unrolled: 1-line block ×3, first 2 shown]
	s_delay_alu instid0(TRANS32_DEP_1) | instskip(NEXT) | instid1(SALU_CYCLE_3)
	s_mul_f32 s2, s2, 0x5f7ffffc
	s_mul_f32 s19, s2, 0x2f800000
	s_delay_alu instid0(SALU_CYCLE_3) | instskip(NEXT) | instid1(SALU_CYCLE_3)
	s_trunc_f32 s19, s19
	s_fmamk_f32 s2, s19, 0xcf800000, s2
	s_cvt_u32_f32 s27, s19
	s_delay_alu instid0(SALU_CYCLE_2) | instskip(NEXT) | instid1(SALU_CYCLE_3)
	s_cvt_u32_f32 s26, s2
	s_mul_u64 s[30:31], s[28:29], s[26:27]
	s_delay_alu instid0(SALU_CYCLE_1)
	s_mul_hi_u32 s37, s26, s31
	s_mul_i32 s36, s26, s31
	s_mul_hi_u32 s34, s26, s30
	s_mul_i32 s19, s27, s30
	s_add_nc_u64 s[36:37], s[34:35], s[36:37]
	s_mul_hi_u32 s2, s27, s30
	s_mul_hi_u32 s21, s27, s31
	s_add_co_u32 s19, s36, s19
	s_add_co_ci_u32 s34, s37, s2
	s_mul_i32 s30, s27, s31
	s_add_co_ci_u32 s31, s21, 0
	s_delay_alu instid0(SALU_CYCLE_1) | instskip(NEXT) | instid1(SALU_CYCLE_1)
	s_add_nc_u64 s[30:31], s[34:35], s[30:31]
	s_add_co_u32 s26, s26, s30
	s_cselect_b32 s2, -1, 0
	s_delay_alu instid0(SALU_CYCLE_1) | instskip(SKIP_1) | instid1(SALU_CYCLE_1)
	s_cmp_lg_u32 s2, 0
	s_add_co_ci_u32 s27, s27, s31
	s_mul_u64 s[28:29], s[28:29], s[26:27]
	s_delay_alu instid0(SALU_CYCLE_1)
	s_mul_hi_u32 s31, s26, s29
	s_mul_i32 s30, s26, s29
	s_mul_hi_u32 s34, s26, s28
	s_mul_i32 s19, s27, s28
	s_add_nc_u64 s[30:31], s[34:35], s[30:31]
	s_mul_hi_u32 s2, s27, s28
	s_mul_hi_u32 s21, s27, s29
	s_add_co_u32 s19, s30, s19
	s_add_co_ci_u32 s34, s31, s2
	s_mul_i32 s28, s27, s29
	s_add_co_ci_u32 s29, s21, 0
	s_delay_alu instid0(SALU_CYCLE_1) | instskip(NEXT) | instid1(SALU_CYCLE_1)
	s_add_nc_u64 s[28:29], s[34:35], s[28:29]
	s_add_co_u32 s2, s26, s28
	s_cselect_b32 s19, -1, 0
	v_mul_hi_u32 v22, v14, s2
	s_cmp_lg_u32 s19, 0
	s_add_co_ci_u32 s34, s27, s29
	s_mov_b64 s[26:27], 0xffffffff
	v_mul_u64_e32 v[18:19], s[34:35], v[14:15]
	s_and_b64 s[26:27], s[2:3], s[26:27]
	v_mul_u64_e32 v[20:21], s[34:35], v[16:17]
	v_mul_u64_e32 v[12:13], s[26:27], v[16:17]
	s_delay_alu instid0(VALU_DEP_3) | instskip(NEXT) | instid1(VALU_DEP_1)
	v_add_nc_u64_e32 v[18:19], v[22:23], v[18:19]
	v_add_co_u32 v3, vcc_lo, v18, v12
	s_delay_alu instid0(VALU_DEP_2) | instskip(SKIP_1) | instid1(VALU_DEP_1)
	v_add_co_ci_u32_e32 v8, vcc_lo, v19, v13, vcc_lo
	v_add_co_ci_u32_e32 v21, vcc_lo, 0, v21, vcc_lo
	v_add_nc_u64_e32 v[8:9], v[8:9], v[20:21]
	s_delay_alu instid0(VALU_DEP_1) | instskip(NEXT) | instid1(VALU_DEP_1)
	v_mul_u64_e32 v[12:13], s[24:25], v[8:9]
	v_sub_co_u32 v5, vcc_lo, v14, v12
	v_add_nc_u64_e32 v[14:15], 1, v[8:9]
	s_delay_alu instid0(VALU_DEP_3) | instskip(SKIP_1) | instid1(VALU_DEP_4)
	v_sub_nc_u32_e32 v3, v16, v13
	v_sub_co_ci_u32_e64 v11, null, v16, v13, vcc_lo
	v_sub_co_u32 v7, s2, v5, s24
	s_delay_alu instid0(VALU_DEP_3) | instskip(NEXT) | instid1(VALU_DEP_2)
	v_subrev_co_ci_u32_e64 v3, null, s25, v3, vcc_lo
	v_cmp_le_u32_e32 vcc_lo, s24, v7
	s_delay_alu instid0(VALU_DEP_2) | instskip(SKIP_1) | instid1(VALU_DEP_2)
	v_subrev_co_ci_u32_e64 v3, null, 0, v3, s2
	v_cndmask_b32_e64 v7, 0, -1, vcc_lo
	v_cmp_le_u32_e32 vcc_lo, s25, v3
	v_cndmask_b32_e64 v12, 0, -1, vcc_lo
	v_cmp_le_u32_e32 vcc_lo, s24, v5
	;; [unrolled: 2-line block ×3, first 2 shown]
	v_cndmask_b32_e64 v16, 0, -1, vcc_lo
	v_cmp_eq_u32_e32 vcc_lo, s25, v3
	v_cndmask_b32_e32 v3, v12, v7, vcc_lo
	v_cmp_eq_u32_e32 vcc_lo, s25, v11
	v_add_nc_u64_e32 v[12:13], 2, v[8:9]
	v_dual_mov_b32 v11, v10 :: v_dual_cndmask_b32 v5, v16, v5, vcc_lo
	s_delay_alu instid0(VALU_DEP_4) | instskip(NEXT) | instid1(VALU_DEP_2)
	v_cmp_ne_u32_e32 vcc_lo, 0, v3
	v_cmp_ne_u32_e64 s2, 0, v5
	s_delay_alu instid0(VALU_DEP_4) | instskip(NEXT) | instid1(VALU_DEP_1)
	v_dual_cndmask_b32 v3, v15, v13, vcc_lo :: v_dual_cndmask_b32 v5, v14, v12, vcc_lo
	v_dual_cndmask_b32 v3, v9, v3, s2 :: v_dual_cndmask_b32 v5, v8, v5, s2
	s_delay_alu instid0(VALU_DEP_1) | instskip(NEXT) | instid1(VALU_DEP_2)
	v_xor_b32_e32 v9, v3, v10
	v_xor_b32_e32 v8, v5, v10
	s_delay_alu instid0(VALU_DEP_1)
	v_sub_nc_u64_e32 v[10:11], v[8:9], v[10:11]
.LBB16_24:
	s_and_not1_saveexec_b32 s2, s3
	s_cbranch_execz .LBB16_26
; %bb.25:
	v_cvt_f32_u32_e32 v3, s16
	s_sub_co_i32 s3, 0, s16
	v_mov_b32_e32 v11, 0
	s_delay_alu instid0(VALU_DEP_2) | instskip(SKIP_1) | instid1(TRANS32_DEP_1)
	v_rcp_iflag_f32_e32 v3, v3
	v_nop
	v_mul_f32_e32 v3, 0x4f7ffffe, v3
	s_delay_alu instid0(VALU_DEP_1) | instskip(NEXT) | instid1(VALU_DEP_1)
	v_cvt_u32_f32_e32 v3, v3
	v_mul_lo_u32 v5, s3, v3
	s_delay_alu instid0(VALU_DEP_1) | instskip(NEXT) | instid1(VALU_DEP_1)
	v_mul_hi_u32 v5, v3, v5
	v_add_nc_u32_e32 v3, v3, v5
	s_delay_alu instid0(VALU_DEP_1) | instskip(NEXT) | instid1(VALU_DEP_1)
	v_mul_hi_u32 v3, v0, v3
	v_mul_lo_u32 v5, v3, s16
	s_delay_alu instid0(VALU_DEP_1) | instskip(NEXT) | instid1(VALU_DEP_1)
	v_sub_nc_u32_e32 v5, v0, v5
	v_subrev_nc_u32_e32 v8, s16, v5
	v_cmp_le_u32_e32 vcc_lo, s16, v5
	s_delay_alu instid0(VALU_DEP_2) | instskip(NEXT) | instid1(VALU_DEP_1)
	v_dual_add_nc_u32 v7, 1, v3 :: v_dual_cndmask_b32 v5, v5, v8, vcc_lo
	v_cndmask_b32_e32 v3, v3, v7, vcc_lo
	s_delay_alu instid0(VALU_DEP_2) | instskip(NEXT) | instid1(VALU_DEP_2)
	v_cmp_le_u32_e32 vcc_lo, s16, v5
	v_add_nc_u32_e32 v7, 1, v3
	s_delay_alu instid0(VALU_DEP_1)
	v_cndmask_b32_e32 v10, v3, v7, vcc_lo
.LBB16_26:
	s_or_b32 exec_lo, exec_lo, s2
	s_delay_alu instid0(VALU_DEP_1) | instskip(SKIP_1) | instid1(VALU_DEP_1)
	v_dual_mov_b32 v12, 0 :: v_dual_bitop2_b32 v13, s9, v11 bitop3:0x54
                                        ; implicit-def: $vgpr8_vgpr9
	s_mov_b32 s2, exec_lo
	v_cmpx_ne_u64_e32 0, v[12:13]
	s_xor_b32 s3, exec_lo, s2
	s_cbranch_execz .LBB16_28
; %bb.27:
	s_cvt_f32_u32 s2, s8
	s_cvt_f32_u32 s18, s9
	s_sub_nc_u64 s[24:25], 0, s[8:9]
	s_mov_b32 s29, 0
	v_dual_mov_b32 v8, v10 :: v_dual_mov_b32 v9, v12
	s_fmamk_f32 s2, s18, 0x4f800000, s2
	v_dual_mov_b32 v14, v11 :: v_dual_mov_b32 v15, v12
	v_dual_mov_b32 v19, v12 :: v_dual_mov_b32 v13, v12
	s_delay_alu instid0(SALU_CYCLE_1) | instskip(NEXT) | instid1(TRANS32_DEP_1)
	v_s_rcp_f32 s2, s2
	s_mul_f32 s2, s2, 0x5f7ffffc
	s_delay_alu instid0(SALU_CYCLE_3) | instskip(NEXT) | instid1(SALU_CYCLE_3)
	s_mul_f32 s18, s2, 0x2f800000
	s_trunc_f32 s18, s18
	s_delay_alu instid0(SALU_CYCLE_3) | instskip(SKIP_1) | instid1(SALU_CYCLE_2)
	s_fmamk_f32 s2, s18, 0xcf800000, s2
	s_cvt_u32_f32 s19, s18
	s_cvt_u32_f32 s18, s2
	s_delay_alu instid0(SALU_CYCLE_3) | instskip(NEXT) | instid1(SALU_CYCLE_1)
	s_mul_u64 s[26:27], s[24:25], s[18:19]
	s_mul_hi_u32 s31, s18, s27
	s_mul_i32 s30, s18, s27
	s_mul_hi_u32 s28, s18, s26
	s_mul_i32 s21, s19, s26
	s_add_nc_u64 s[30:31], s[28:29], s[30:31]
	s_mul_hi_u32 s2, s19, s26
	s_mul_hi_u32 s33, s19, s27
	s_add_co_u32 s21, s30, s21
	s_add_co_ci_u32 s28, s31, s2
	s_mul_i32 s26, s19, s27
	s_add_co_ci_u32 s27, s33, 0
	s_delay_alu instid0(SALU_CYCLE_1) | instskip(NEXT) | instid1(SALU_CYCLE_1)
	s_add_nc_u64 s[26:27], s[28:29], s[26:27]
	s_add_co_u32 s18, s18, s26
	s_cselect_b32 s2, -1, 0
	s_delay_alu instid0(SALU_CYCLE_1) | instskip(SKIP_1) | instid1(SALU_CYCLE_1)
	s_cmp_lg_u32 s2, 0
	s_add_co_ci_u32 s19, s19, s27
	s_mul_u64 s[24:25], s[24:25], s[18:19]
	s_delay_alu instid0(SALU_CYCLE_1)
	s_mul_hi_u32 s27, s18, s25
	s_mul_i32 s26, s18, s25
	s_mul_hi_u32 s28, s18, s24
	s_mul_i32 s21, s19, s24
	s_add_nc_u64 s[26:27], s[28:29], s[26:27]
	s_mul_hi_u32 s2, s19, s24
	s_mul_hi_u32 s30, s19, s25
	s_add_co_u32 s21, s26, s21
	s_add_co_ci_u32 s28, s27, s2
	s_mul_i32 s24, s19, s25
	s_add_co_ci_u32 s25, s30, 0
	s_delay_alu instid0(SALU_CYCLE_1) | instskip(NEXT) | instid1(SALU_CYCLE_1)
	s_add_nc_u64 s[24:25], s[28:29], s[24:25]
	s_add_co_u32 s2, s18, s24
	s_cselect_b32 s18, -1, 0
	v_nop
	v_mul_hi_u32 v18, v10, s2
	s_cmp_lg_u32 s18, 0
	s_add_co_ci_u32 s28, s19, s25
	s_mov_b64 s[18:19], 0xffffffff
	v_mul_u64_e32 v[8:9], s[28:29], v[8:9]
	s_and_b64 s[18:19], s[2:3], s[18:19]
	s_delay_alu instid0(SALU_CYCLE_1) | instskip(SKIP_1) | instid1(VALU_DEP_3)
	v_mul_u64_e32 v[16:17], s[18:19], v[14:15]
	v_mul_u64_e32 v[14:15], s[28:29], v[14:15]
	v_add_nc_u64_e32 v[8:9], v[18:19], v[8:9]
	s_delay_alu instid0(VALU_DEP_1) | instskip(NEXT) | instid1(VALU_DEP_2)
	v_add_co_u32 v3, vcc_lo, v8, v16
	v_add_co_ci_u32_e32 v12, vcc_lo, v9, v17, vcc_lo
	s_delay_alu instid0(VALU_DEP_4) | instskip(NEXT) | instid1(VALU_DEP_1)
	v_add_co_ci_u32_e32 v15, vcc_lo, 0, v15, vcc_lo
	v_add_nc_u64_e32 v[8:9], v[12:13], v[14:15]
	s_delay_alu instid0(VALU_DEP_1) | instskip(NEXT) | instid1(VALU_DEP_1)
	v_mul_u64_e32 v[8:9], s[8:9], v[8:9]
	v_sub_nc_u32_e32 v3, v11, v9
	s_delay_alu instid0(VALU_DEP_2) | instskip(NEXT) | instid1(VALU_DEP_1)
	v_sub_co_u32 v5, vcc_lo, v10, v8
	v_sub_co_ci_u32_e64 v7, null, v11, v9, vcc_lo
	s_delay_alu instid0(VALU_DEP_3) | instskip(NEXT) | instid1(VALU_DEP_3)
	v_subrev_co_ci_u32_e64 v3, null, s9, v3, vcc_lo
	v_sub_co_u32 v8, vcc_lo, v5, s8
	v_cmp_le_u32_e64 s2, s8, v5
	s_delay_alu instid0(VALU_DEP_3) | instskip(SKIP_1) | instid1(VALU_DEP_3)
	v_subrev_co_ci_u32_e64 v9, null, 0, v3, vcc_lo
	v_subrev_co_ci_u32_e64 v3, null, s9, v3, vcc_lo
	v_cndmask_b32_e64 v10, 0, -1, s2
	v_cmp_le_u32_e64 s2, s8, v8
	v_cmp_le_u32_e32 vcc_lo, s9, v7
	s_delay_alu instid0(VALU_DEP_2) | instskip(SKIP_3) | instid1(VALU_DEP_3)
	v_cndmask_b32_e64 v11, 0, -1, s2
	v_cmp_le_u32_e64 s2, s9, v9
	v_cndmask_b32_e64 v13, 0, -1, vcc_lo
	v_cmp_eq_u32_e32 vcc_lo, s9, v9
	v_cndmask_b32_e64 v12, 0, -1, s2
	s_delay_alu instid0(VALU_DEP_1) | instskip(SKIP_1) | instid1(VALU_DEP_1)
	v_cndmask_b32_e32 v9, v12, v11, vcc_lo
	v_sub_co_u32 v11, vcc_lo, v8, s8
	v_subrev_co_ci_u32_e64 v3, null, 0, v3, vcc_lo
	v_cmp_eq_u32_e32 vcc_lo, s9, v7
	v_cndmask_b32_e32 v3, v13, v10, vcc_lo
	v_cmp_ne_u32_e32 vcc_lo, 0, v9
	v_cndmask_b32_e32 v7, v8, v11, vcc_lo
	s_delay_alu instid0(VALU_DEP_3) | instskip(NEXT) | instid1(VALU_DEP_2)
	v_cmp_ne_u32_e32 vcc_lo, 0, v3
                                        ; implicit-def: $vgpr10_vgpr11
	v_cndmask_b32_e32 v8, v5, v7, vcc_lo
.LBB16_28:
	s_and_not1_saveexec_b32 s2, s3
	s_cbranch_execz .LBB16_30
; %bb.29:
	v_cvt_f32_u32_e32 v3, s8
	s_sub_co_i32 s3, 0, s8
	s_delay_alu instid0(VALU_DEP_1) | instskip(SKIP_1) | instid1(TRANS32_DEP_1)
	v_rcp_iflag_f32_e32 v3, v3
	v_nop
	v_mul_f32_e32 v3, 0x4f7ffffe, v3
	s_delay_alu instid0(VALU_DEP_1) | instskip(NEXT) | instid1(VALU_DEP_1)
	v_cvt_u32_f32_e32 v3, v3
	v_mul_lo_u32 v5, s3, v3
	s_delay_alu instid0(VALU_DEP_1) | instskip(NEXT) | instid1(VALU_DEP_1)
	v_mul_hi_u32 v5, v3, v5
	v_add_nc_u32_e32 v3, v3, v5
	s_delay_alu instid0(VALU_DEP_1) | instskip(NEXT) | instid1(VALU_DEP_1)
	v_mul_hi_u32 v3, v10, v3
	v_mul_lo_u32 v3, v3, s8
	s_delay_alu instid0(VALU_DEP_1) | instskip(NEXT) | instid1(VALU_DEP_1)
	v_sub_nc_u32_e32 v3, v10, v3
	v_subrev_nc_u32_e32 v5, s8, v3
	v_cmp_le_u32_e32 vcc_lo, s8, v3
	s_delay_alu instid0(VALU_DEP_2) | instskip(NEXT) | instid1(VALU_DEP_1)
	v_cndmask_b32_e32 v3, v3, v5, vcc_lo
	v_subrev_nc_u32_e32 v5, s8, v3
	v_cmp_le_u32_e32 vcc_lo, s8, v3
	s_delay_alu instid0(VALU_DEP_2)
	v_cndmask_b32_e32 v8, v3, v5, vcc_lo
.LBB16_30:
	s_or_b32 exec_lo, exec_lo, s2
	v_mul_lo_u32 v3, v4, s20
	s_load_b96 s[0:2], s[0:1], 0x50
	v_add_nc_u32_e32 v4, 1, v6
	v_cvt_f32_i32_e32 v6, v6
	s_mul_u64 s[18:19], s[14:15], s[12:13]
	s_delay_alu instid0(VALU_DEP_3) | instskip(SKIP_3) | instid1(VALU_DEP_4)
	v_dual_ashrrev_i32 v9, 31, v8 :: v_dual_sub_nc_u32 v3, v0, v3
	v_add_nc_u32_e32 v5, 1, v2
	v_cvt_f32_i32_e32 v4, v4
	v_cvt_f32_i32_e32 v2, v2
	v_add_nc_u32_e32 v7, 1, v3
	s_delay_alu instid0(VALU_DEP_4) | instskip(SKIP_1) | instid1(VALU_DEP_3)
	v_cvt_f32_i32_e32 v5, v5
	v_cvt_f32_i32_e32 v3, v3
	;; [unrolled: 1-line block ×3, first 2 shown]
	s_wait_kmcnt 0x0
	v_fma_f32 v4, s1, v4, -0.5
	v_fma_f32 v5, s0, v5, -0.5
	;; [unrolled: 1-line block ×6, first 2 shown]
	v_ceil_f32_e32 v4, v4
	v_ceil_f32_e32 v5, v5
	;; [unrolled: 1-line block ×6, first 2 shown]
	v_cvt_i32_f32_e32 v4, v4
	v_cvt_i32_f32_e32 v5, v5
	;; [unrolled: 1-line block ×6, first 2 shown]
	v_min_i32_e32 v17, s10, v5
	v_min_i32_e32 v18, s12, v4
	;; [unrolled: 1-line block ×6, first 2 shown]
	v_cmp_gt_i32_e64 s0, v17, v2
	v_cmp_gt_i32_e64 s1, v18, v6
	;; [unrolled: 1-line block ×3, first 2 shown]
	s_mul_u64 s[10:11], s[18:19], s[10:11]
	s_mul_u64 s[12:13], s[16:17], s[8:9]
	s_mov_b64 s[16:17], 0
	s_branch .LBB16_33
.LBB16_31:                              ;   in Loop: Header=BB16_33 Depth=1
	s_or_b32 exec_lo, exec_lo, s20
.LBB16_32:                              ;   in Loop: Header=BB16_33 Depth=1
	s_delay_alu instid0(SALU_CYCLE_1)
	s_or_b32 exec_lo, exec_lo, s3
	s_add_nc_u64 s[16:17], s[16:17], 1
	v_lshl_add_u64 v[2:3], v[0:1], 2, s[22:23]
	v_cmp_le_u64_e64 s3, s[6:7], s[16:17]
	v_add_nc_u64_e32 v[0:1], s[12:13], v[0:1]
	global_store_b32 v[2:3], v22, off
	s_and_b32 vcc_lo, exec_lo, s3
	s_cbranch_vccnz .LBB16_44
.LBB16_33:                              ; =>This Loop Header: Depth=1
                                        ;     Child Loop BB16_37 Depth 2
                                        ;       Child Loop BB16_40 Depth 3
                                        ;         Child Loop BB16_42 Depth 4
	s_wait_xcnt 0x0
	v_mov_b32_e32 v22, 0
	s_and_saveexec_b32 s3, s0
	s_cbranch_execz .LBB16_32
; %bb.34:                               ;   in Loop: Header=BB16_33 Depth=1
	v_mad_nc_u64_u32 v[2:3], s16, s8, v[8:9]
	s_mul_i32 s20, s17, s8
	s_mul_i32 s21, s16, s9
	v_dual_mov_b32 v22, 0 :: v_dual_mov_b32 v4, v20
	s_delay_alu instid0(VALU_DEP_2) | instskip(SKIP_1) | instid1(VALU_DEP_1)
	v_add3_u32 v3, s21, s20, v3
	s_mov_b32 s20, 0
	v_mul_u64_e32 v[2:3], s[10:11], v[2:3]
	s_delay_alu instid0(VALU_DEP_1)
	v_lshl_add_u64 v[2:3], v[2:3], 2, s[4:5]
	s_branch .LBB16_37
.LBB16_35:                              ;   in Loop: Header=BB16_37 Depth=2
	s_or_b32 exec_lo, exec_lo, s24
.LBB16_36:                              ;   in Loop: Header=BB16_37 Depth=2
	s_delay_alu instid0(SALU_CYCLE_1) | instskip(SKIP_1) | instid1(VALU_DEP_1)
	s_or_b32 exec_lo, exec_lo, s21
	v_add_nc_u32_e32 v4, 1, v4
	v_cmp_ge_i32_e32 vcc_lo, v4, v17
	s_or_b32 s20, vcc_lo, s20
	s_delay_alu instid0(SALU_CYCLE_1)
	s_and_not1_b32 exec_lo, exec_lo, s20
	s_cbranch_execz .LBB16_31
.LBB16_37:                              ;   Parent Loop BB16_33 Depth=1
                                        ; =>  This Loop Header: Depth=2
                                        ;       Child Loop BB16_40 Depth 3
                                        ;         Child Loop BB16_42 Depth 4
	s_and_saveexec_b32 s21, s1
	s_cbranch_execz .LBB16_36
; %bb.38:                               ;   in Loop: Header=BB16_37 Depth=2
	v_dual_mov_b32 v10, v16 :: v_dual_ashrrev_i32 v5, 31, v4
	s_mov_b32 s24, 0
	s_delay_alu instid0(VALU_DEP_1) | instskip(NEXT) | instid1(VALU_DEP_1)
	v_mul_u64_e32 v[6:7], s[18:19], v[4:5]
	v_lshl_add_u64 v[6:7], v[6:7], 2, v[2:3]
	s_branch .LBB16_40
.LBB16_39:                              ;   in Loop: Header=BB16_40 Depth=3
	s_or_b32 exec_lo, exec_lo, s25
	v_add_nc_u32_e32 v10, 1, v10
	s_delay_alu instid0(VALU_DEP_1) | instskip(SKIP_1) | instid1(SALU_CYCLE_1)
	v_cmp_ge_i32_e32 vcc_lo, v10, v18
	s_or_b32 s24, vcc_lo, s24
	s_and_not1_b32 exec_lo, exec_lo, s24
	s_cbranch_execz .LBB16_35
.LBB16_40:                              ;   Parent Loop BB16_33 Depth=1
                                        ;     Parent Loop BB16_37 Depth=2
                                        ; =>    This Loop Header: Depth=3
                                        ;         Child Loop BB16_42 Depth 4
	s_and_saveexec_b32 s25, s2
	s_cbranch_execz .LBB16_39
; %bb.41:                               ;   in Loop: Header=BB16_40 Depth=3
	v_dual_mov_b32 v14, v21 :: v_dual_ashrrev_i32 v11, 31, v10
	s_mov_b32 s26, 0
	s_delay_alu instid0(VALU_DEP_1) | instskip(NEXT) | instid1(VALU_DEP_1)
	v_mul_u64_e32 v[12:13], s[14:15], v[10:11]
	v_lshl_add_u64 v[12:13], v[12:13], 2, v[6:7]
.LBB16_42:                              ;   Parent Loop BB16_33 Depth=1
                                        ;     Parent Loop BB16_37 Depth=2
                                        ;       Parent Loop BB16_40 Depth=3
                                        ; =>      This Inner Loop Header: Depth=4
	s_delay_alu instid0(VALU_DEP_3) | instskip(NEXT) | instid1(VALU_DEP_1)
	v_ashrrev_i32_e32 v15, 31, v14
	v_lshl_add_u64 v[24:25], v[14:15], 2, v[12:13]
	v_add_nc_u32_e32 v14, 1, v14
	global_load_b32 v5, v[24:25], off
	v_cmp_ge_i32_e32 vcc_lo, v14, v19
	s_or_b32 s26, vcc_lo, s26
	s_wait_loadcnt 0x0
	v_add_f32_e32 v22, v22, v5
	s_wait_xcnt 0x0
	s_and_not1_b32 exec_lo, exec_lo, s26
	s_cbranch_execnz .LBB16_42
; %bb.43:                               ;   in Loop: Header=BB16_40 Depth=3
	s_or_b32 exec_lo, exec_lo, s26
	s_branch .LBB16_39
.LBB16_44:
	s_endpgm
	.section	.rodata,"a",@progbits
	.p2align	6, 0x0
	.amdhsa_kernel _ZN2at6native12_GLOBAL__N_137upsample_nearest3d_backward_out_frameIffXadL_ZNS0_46nearest_neighbor_exact_bw_compute_source_indexEfiiEEEEvPKT_mmmmmmmmPS3_fff
		.amdhsa_group_segment_fixed_size 0
		.amdhsa_private_segment_fixed_size 0
		.amdhsa_kernarg_size 352
		.amdhsa_user_sgpr_count 2
		.amdhsa_user_sgpr_dispatch_ptr 0
		.amdhsa_user_sgpr_queue_ptr 0
		.amdhsa_user_sgpr_kernarg_segment_ptr 1
		.amdhsa_user_sgpr_dispatch_id 0
		.amdhsa_user_sgpr_kernarg_preload_length 0
		.amdhsa_user_sgpr_kernarg_preload_offset 0
		.amdhsa_user_sgpr_private_segment_size 0
		.amdhsa_wavefront_size32 1
		.amdhsa_uses_dynamic_stack 0
		.amdhsa_enable_private_segment 0
		.amdhsa_system_sgpr_workgroup_id_x 1
		.amdhsa_system_sgpr_workgroup_id_y 0
		.amdhsa_system_sgpr_workgroup_id_z 0
		.amdhsa_system_sgpr_workgroup_info 0
		.amdhsa_system_vgpr_workitem_id 0
		.amdhsa_next_free_vgpr 26
		.amdhsa_next_free_sgpr 39
		.amdhsa_named_barrier_count 0
		.amdhsa_reserve_vcc 1
		.amdhsa_float_round_mode_32 0
		.amdhsa_float_round_mode_16_64 0
		.amdhsa_float_denorm_mode_32 3
		.amdhsa_float_denorm_mode_16_64 3
		.amdhsa_fp16_overflow 0
		.amdhsa_memory_ordered 1
		.amdhsa_forward_progress 1
		.amdhsa_inst_pref_size 45
		.amdhsa_round_robin_scheduling 0
		.amdhsa_exception_fp_ieee_invalid_op 0
		.amdhsa_exception_fp_denorm_src 0
		.amdhsa_exception_fp_ieee_div_zero 0
		.amdhsa_exception_fp_ieee_overflow 0
		.amdhsa_exception_fp_ieee_underflow 0
		.amdhsa_exception_fp_ieee_inexact 0
		.amdhsa_exception_int_div_zero 0
	.end_amdhsa_kernel
	.section	.text._ZN2at6native12_GLOBAL__N_137upsample_nearest3d_backward_out_frameIffXadL_ZNS0_46nearest_neighbor_exact_bw_compute_source_indexEfiiEEEEvPKT_mmmmmmmmPS3_fff,"axG",@progbits,_ZN2at6native12_GLOBAL__N_137upsample_nearest3d_backward_out_frameIffXadL_ZNS0_46nearest_neighbor_exact_bw_compute_source_indexEfiiEEEEvPKT_mmmmmmmmPS3_fff,comdat
.Lfunc_end16:
	.size	_ZN2at6native12_GLOBAL__N_137upsample_nearest3d_backward_out_frameIffXadL_ZNS0_46nearest_neighbor_exact_bw_compute_source_indexEfiiEEEEvPKT_mmmmmmmmPS3_fff, .Lfunc_end16-_ZN2at6native12_GLOBAL__N_137upsample_nearest3d_backward_out_frameIffXadL_ZNS0_46nearest_neighbor_exact_bw_compute_source_indexEfiiEEEEvPKT_mmmmmmmmPS3_fff
                                        ; -- End function
	.set _ZN2at6native12_GLOBAL__N_137upsample_nearest3d_backward_out_frameIffXadL_ZNS0_46nearest_neighbor_exact_bw_compute_source_indexEfiiEEEEvPKT_mmmmmmmmPS3_fff.num_vgpr, 26
	.set _ZN2at6native12_GLOBAL__N_137upsample_nearest3d_backward_out_frameIffXadL_ZNS0_46nearest_neighbor_exact_bw_compute_source_indexEfiiEEEEvPKT_mmmmmmmmPS3_fff.num_agpr, 0
	.set _ZN2at6native12_GLOBAL__N_137upsample_nearest3d_backward_out_frameIffXadL_ZNS0_46nearest_neighbor_exact_bw_compute_source_indexEfiiEEEEvPKT_mmmmmmmmPS3_fff.numbered_sgpr, 39
	.set _ZN2at6native12_GLOBAL__N_137upsample_nearest3d_backward_out_frameIffXadL_ZNS0_46nearest_neighbor_exact_bw_compute_source_indexEfiiEEEEvPKT_mmmmmmmmPS3_fff.num_named_barrier, 0
	.set _ZN2at6native12_GLOBAL__N_137upsample_nearest3d_backward_out_frameIffXadL_ZNS0_46nearest_neighbor_exact_bw_compute_source_indexEfiiEEEEvPKT_mmmmmmmmPS3_fff.private_seg_size, 0
	.set _ZN2at6native12_GLOBAL__N_137upsample_nearest3d_backward_out_frameIffXadL_ZNS0_46nearest_neighbor_exact_bw_compute_source_indexEfiiEEEEvPKT_mmmmmmmmPS3_fff.uses_vcc, 1
	.set _ZN2at6native12_GLOBAL__N_137upsample_nearest3d_backward_out_frameIffXadL_ZNS0_46nearest_neighbor_exact_bw_compute_source_indexEfiiEEEEvPKT_mmmmmmmmPS3_fff.uses_flat_scratch, 0
	.set _ZN2at6native12_GLOBAL__N_137upsample_nearest3d_backward_out_frameIffXadL_ZNS0_46nearest_neighbor_exact_bw_compute_source_indexEfiiEEEEvPKT_mmmmmmmmPS3_fff.has_dyn_sized_stack, 0
	.set _ZN2at6native12_GLOBAL__N_137upsample_nearest3d_backward_out_frameIffXadL_ZNS0_46nearest_neighbor_exact_bw_compute_source_indexEfiiEEEEvPKT_mmmmmmmmPS3_fff.has_recursion, 0
	.set _ZN2at6native12_GLOBAL__N_137upsample_nearest3d_backward_out_frameIffXadL_ZNS0_46nearest_neighbor_exact_bw_compute_source_indexEfiiEEEEvPKT_mmmmmmmmPS3_fff.has_indirect_call, 0
	.section	.AMDGPU.csdata,"",@progbits
; Kernel info:
; codeLenInByte = 5692
; TotalNumSgprs: 41
; NumVgprs: 26
; ScratchSize: 0
; MemoryBound: 0
; FloatMode: 240
; IeeeMode: 1
; LDSByteSize: 0 bytes/workgroup (compile time only)
; SGPRBlocks: 0
; VGPRBlocks: 1
; NumSGPRsForWavesPerEU: 41
; NumVGPRsForWavesPerEU: 26
; NamedBarCnt: 0
; Occupancy: 16
; WaveLimiterHint : 0
; COMPUTE_PGM_RSRC2:SCRATCH_EN: 0
; COMPUTE_PGM_RSRC2:USER_SGPR: 2
; COMPUTE_PGM_RSRC2:TRAP_HANDLER: 0
; COMPUTE_PGM_RSRC2:TGID_X_EN: 1
; COMPUTE_PGM_RSRC2:TGID_Y_EN: 0
; COMPUTE_PGM_RSRC2:TGID_Z_EN: 0
; COMPUTE_PGM_RSRC2:TIDIG_COMP_CNT: 0
	.section	.text._ZN2at6native12_GLOBAL__N_137upsample_nearest3d_backward_out_frameIN3c104HalfEfXadL_ZNS0_46nearest_neighbor_exact_bw_compute_source_indexEfiiEEEEvPKT_mmmmmmmmPS5_fff,"axG",@progbits,_ZN2at6native12_GLOBAL__N_137upsample_nearest3d_backward_out_frameIN3c104HalfEfXadL_ZNS0_46nearest_neighbor_exact_bw_compute_source_indexEfiiEEEEvPKT_mmmmmmmmPS5_fff,comdat
	.globl	_ZN2at6native12_GLOBAL__N_137upsample_nearest3d_backward_out_frameIN3c104HalfEfXadL_ZNS0_46nearest_neighbor_exact_bw_compute_source_indexEfiiEEEEvPKT_mmmmmmmmPS5_fff ; -- Begin function _ZN2at6native12_GLOBAL__N_137upsample_nearest3d_backward_out_frameIN3c104HalfEfXadL_ZNS0_46nearest_neighbor_exact_bw_compute_source_indexEfiiEEEEvPKT_mmmmmmmmPS5_fff
	.p2align	8
	.type	_ZN2at6native12_GLOBAL__N_137upsample_nearest3d_backward_out_frameIN3c104HalfEfXadL_ZNS0_46nearest_neighbor_exact_bw_compute_source_indexEfiiEEEEvPKT_mmmmmmmmPS5_fff,@function
_ZN2at6native12_GLOBAL__N_137upsample_nearest3d_backward_out_frameIN3c104HalfEfXadL_ZNS0_46nearest_neighbor_exact_bw_compute_source_indexEfiiEEEEvPKT_mmmmmmmmPS5_fff: ; @_ZN2at6native12_GLOBAL__N_137upsample_nearest3d_backward_out_frameIN3c104HalfEfXadL_ZNS0_46nearest_neighbor_exact_bw_compute_source_indexEfiiEEEEvPKT_mmmmmmmmPS5_fff
; %bb.0:
	s_clause 0x2
	s_load_b32 s2, s[0:1], 0x6c
	s_load_b512 s[4:19], s[0:1], 0x0
	s_load_b128 s[20:23], s[0:1], 0x40
	s_bfe_u32 s3, ttmp6, 0x4000c
	v_mov_b32_e32 v2, 0
	s_add_co_i32 s3, s3, 1
	s_and_b32 s24, ttmp6, 15
	s_mul_i32 s3, ttmp9, s3
	s_getreg_b32 s25, hwreg(HW_REG_IB_STS2, 6, 4)
	v_mov_b32_e32 v1, v2
	s_add_co_i32 s24, s24, s3
	s_wait_kmcnt 0x0
	s_and_b32 s2, s2, 0xffff
	s_cmp_eq_u32 s25, 0
	s_cselect_b32 s3, ttmp9, s24
	s_mul_u64 s[24:25], s[18:19], s[16:17]
	v_mad_nc_u64_u32 v[0:1], s2, s3, v[0:1]
	s_mul_u64 s[2:3], s[24:25], s[8:9]
	s_delay_alu instid0(SALU_CYCLE_1)
	s_mul_u64 s[2:3], s[2:3], s[20:21]
	s_delay_alu instid0(VALU_DEP_1) | instid1(SALU_CYCLE_1)
	v_cmp_gt_u64_e32 vcc_lo, s[2:3], v[0:1]
	s_and_saveexec_b32 s2, vcc_lo
	s_cbranch_execz .LBB17_44
; %bb.1:
	v_or_b32_e32 v3, s19, v1
	s_delay_alu instid0(VALU_DEP_1) | instskip(SKIP_1) | instid1(SALU_CYCLE_1)
	v_cmp_ne_u64_e32 vcc_lo, 0, v[2:3]
                                        ; implicit-def: $vgpr2_vgpr3
	s_and_saveexec_b32 s2, vcc_lo
	s_xor_b32 s3, exec_lo, s2
	s_cbranch_execz .LBB17_3
; %bb.2:
	s_cvt_f32_u32 s2, s18
	s_cvt_f32_u32 s26, s19
	s_sub_nc_u64 s[28:29], 0, s[18:19]
	s_mov_b32 s35, 0
	v_dual_mov_b32 v3, 0 :: v_dual_mov_b32 v2, v0
	s_fmamk_f32 s2, s26, 0x4f800000, s2
	s_delay_alu instid0(SALU_CYCLE_3) | instskip(NEXT) | instid1(TRANS32_DEP_1)
	v_s_rcp_f32 s2, s2
	s_mul_f32 s2, s2, 0x5f7ffffc
	s_delay_alu instid0(SALU_CYCLE_3) | instskip(NEXT) | instid1(SALU_CYCLE_3)
	s_mul_f32 s26, s2, 0x2f800000
	s_trunc_f32 s26, s26
	s_delay_alu instid0(SALU_CYCLE_3) | instskip(SKIP_1) | instid1(SALU_CYCLE_2)
	s_fmamk_f32 s2, s26, 0xcf800000, s2
	s_cvt_u32_f32 s27, s26
	s_cvt_u32_f32 s26, s2
	s_delay_alu instid0(SALU_CYCLE_3) | instskip(NEXT) | instid1(SALU_CYCLE_1)
	s_mul_u64 s[30:31], s[28:29], s[26:27]
	s_mul_hi_u32 s37, s26, s31
	s_mul_i32 s36, s26, s31
	s_mul_hi_u32 s34, s26, s30
	s_mul_i32 s33, s27, s30
	s_add_nc_u64 s[36:37], s[34:35], s[36:37]
	s_mul_hi_u32 s2, s27, s30
	s_mul_hi_u32 s38, s27, s31
	s_mul_i32 s30, s27, s31
	s_add_co_u32 s31, s36, s33
	s_add_co_ci_u32 s34, s37, s2
	s_add_co_ci_u32 s31, s38, 0
	s_delay_alu instid0(SALU_CYCLE_1) | instskip(NEXT) | instid1(SALU_CYCLE_1)
	s_add_nc_u64 s[30:31], s[34:35], s[30:31]
	s_add_co_u32 s26, s26, s30
	s_cselect_b32 s2, -1, 0
	s_delay_alu instid0(SALU_CYCLE_1) | instskip(SKIP_1) | instid1(SALU_CYCLE_1)
	s_cmp_lg_u32 s2, 0
	s_add_co_ci_u32 s27, s27, s31
	s_mul_u64 s[28:29], s[28:29], s[26:27]
	s_delay_alu instid0(SALU_CYCLE_1)
	s_mul_hi_u32 s31, s26, s29
	s_mul_i32 s30, s26, s29
	s_mul_hi_u32 s34, s26, s28
	s_mul_i32 s33, s27, s28
	s_add_nc_u64 s[30:31], s[34:35], s[30:31]
	s_mul_hi_u32 s2, s27, s28
	s_mul_hi_u32 s36, s27, s29
	s_mul_i32 s28, s27, s29
	s_add_co_u32 s29, s30, s33
	s_add_co_ci_u32 s34, s31, s2
	s_add_co_ci_u32 s29, s36, 0
	s_delay_alu instid0(SALU_CYCLE_1) | instskip(NEXT) | instid1(SALU_CYCLE_1)
	s_add_nc_u64 s[28:29], s[34:35], s[28:29]
	s_add_co_u32 s2, s26, s28
	s_cselect_b32 s26, -1, 0
	s_delay_alu instid0(SALU_CYCLE_1)
	s_cmp_lg_u32 s26, 0
	s_add_co_ci_u32 s34, s27, s29
	s_mov_b64 s[26:27], 0xffffffff
	v_mul_u64_e32 v[4:5], s[34:35], v[2:3]
	v_mul_hi_u32 v2, v0, s2
	s_and_b64 s[26:27], s[2:3], s[26:27]
	s_delay_alu instid0(VALU_DEP_1) | instskip(SKIP_1) | instid1(VALU_DEP_1)
	v_add_nc_u64_e32 v[4:5], v[2:3], v[4:5]
	v_mov_b32_e32 v2, v1
	v_mul_u64_e32 v[6:7], s[26:27], v[2:3]
	v_mul_u64_e32 v[8:9], s[34:35], v[2:3]
	s_delay_alu instid0(VALU_DEP_2) | instskip(NEXT) | instid1(VALU_DEP_3)
	v_add_co_u32 v2, vcc_lo, v4, v6
	v_add_co_ci_u32_e32 v2, vcc_lo, v5, v7, vcc_lo
	s_delay_alu instid0(VALU_DEP_3) | instskip(NEXT) | instid1(VALU_DEP_1)
	v_add_co_ci_u32_e32 v9, vcc_lo, 0, v9, vcc_lo
	v_add_nc_u64_e32 v[2:3], v[2:3], v[8:9]
	s_delay_alu instid0(VALU_DEP_1) | instskip(NEXT) | instid1(VALU_DEP_1)
	v_mul_u64_e32 v[4:5], s[18:19], v[2:3]
	v_sub_nc_u32_e32 v6, v1, v5
	s_delay_alu instid0(VALU_DEP_2) | instskip(NEXT) | instid1(VALU_DEP_1)
	v_sub_co_u32 v4, vcc_lo, v0, v4
	v_sub_co_ci_u32_e64 v11, null, v1, v5, vcc_lo
	s_delay_alu instid0(VALU_DEP_3) | instskip(NEXT) | instid1(VALU_DEP_3)
	v_subrev_co_ci_u32_e64 v6, null, s19, v6, vcc_lo
	v_sub_co_u32 v8, s2, v4, s18
	v_cmp_le_u32_e32 vcc_lo, s18, v4
	s_delay_alu instid0(VALU_DEP_3) | instskip(NEXT) | instid1(VALU_DEP_3)
	v_subrev_co_ci_u32_e64 v9, null, 0, v6, s2
	v_cmp_le_u32_e64 s2, s18, v8
	v_add_nc_u64_e32 v[6:7], 2, v[2:3]
	v_cndmask_b32_e64 v12, 0, -1, vcc_lo
	s_delay_alu instid0(VALU_DEP_4) | instskip(SKIP_3) | instid1(VALU_DEP_1)
	v_cmp_eq_u32_e32 vcc_lo, s19, v9
	v_add_nc_u64_e32 v[4:5], 1, v[2:3]
	v_cndmask_b32_e64 v8, 0, -1, s2
	v_cmp_le_u32_e64 s2, s19, v9
	v_cndmask_b32_e64 v10, 0, -1, s2
	v_cmp_eq_u32_e64 s2, s19, v11
	s_delay_alu instid0(VALU_DEP_2) | instskip(SKIP_2) | instid1(VALU_DEP_3)
	v_cndmask_b32_e32 v8, v10, v8, vcc_lo
	v_cmp_le_u32_e32 vcc_lo, s19, v11
	v_cndmask_b32_e64 v9, 0, -1, vcc_lo
	v_cmp_ne_u32_e32 vcc_lo, 0, v8
	s_delay_alu instid0(VALU_DEP_2) | instskip(SKIP_1) | instid1(VALU_DEP_2)
	v_dual_cndmask_b32 v8, v9, v12, s2 :: v_dual_cndmask_b32 v4, v4, v6, vcc_lo
	v_cndmask_b32_e32 v5, v5, v7, vcc_lo
	v_cmp_ne_u32_e32 vcc_lo, 0, v8
	s_delay_alu instid0(VALU_DEP_2)
	v_dual_cndmask_b32 v3, v3, v5 :: v_dual_cndmask_b32 v2, v2, v4
.LBB17_3:
	s_and_not1_saveexec_b32 s2, s3
	s_cbranch_execz .LBB17_5
; %bb.4:
	v_cvt_f32_u32_e32 v2, s18
	s_sub_co_i32 s3, 0, s18
	s_delay_alu instid0(VALU_DEP_1) | instskip(SKIP_1) | instid1(TRANS32_DEP_1)
	v_rcp_iflag_f32_e32 v2, v2
	v_nop
	v_mul_f32_e32 v2, 0x4f7ffffe, v2
	s_delay_alu instid0(VALU_DEP_1) | instskip(NEXT) | instid1(VALU_DEP_1)
	v_cvt_u32_f32_e32 v2, v2
	v_mul_lo_u32 v3, s3, v2
	s_delay_alu instid0(VALU_DEP_1) | instskip(NEXT) | instid1(VALU_DEP_1)
	v_mul_hi_u32 v3, v2, v3
	v_add_nc_u32_e32 v2, v2, v3
	s_delay_alu instid0(VALU_DEP_1) | instskip(NEXT) | instid1(VALU_DEP_1)
	v_mul_hi_u32 v2, v0, v2
	v_mul_lo_u32 v3, v2, s18
	s_delay_alu instid0(VALU_DEP_1) | instskip(NEXT) | instid1(VALU_DEP_1)
	v_dual_add_nc_u32 v4, 1, v2 :: v_dual_sub_nc_u32 v3, v0, v3
	v_subrev_nc_u32_e32 v5, s18, v3
	v_cmp_le_u32_e32 vcc_lo, s18, v3
	s_delay_alu instid0(VALU_DEP_2) | instskip(NEXT) | instid1(VALU_DEP_1)
	v_dual_cndmask_b32 v3, v3, v5 :: v_dual_cndmask_b32 v2, v2, v4
	v_cmp_le_u32_e32 vcc_lo, s18, v3
	s_delay_alu instid0(VALU_DEP_2) | instskip(NEXT) | instid1(VALU_DEP_1)
	v_dual_mov_b32 v3, 0 :: v_dual_add_nc_u32 v4, 1, v2
	v_cndmask_b32_e32 v2, v2, v4, vcc_lo
.LBB17_5:
	s_or_b32 exec_lo, exec_lo, s2
	s_delay_alu instid0(VALU_DEP_1) | instskip(SKIP_1) | instid1(VALU_DEP_1)
	v_dual_mov_b32 v6, 0 :: v_dual_bitop2_b32 v7, s21, v3 bitop3:0x54
                                        ; implicit-def: $vgpr4_vgpr5
	s_mov_b32 s2, exec_lo
	v_cmpx_ne_u64_e32 0, v[6:7]
	s_xor_b32 s3, exec_lo, s2
	s_cbranch_execz .LBB17_7
; %bb.6:
	s_cvt_f32_u32 s2, s20
	s_cvt_f32_u32 s26, s21
	s_sub_nc_u64 s[28:29], 0, s[20:21]
	s_mov_b32 s35, 0
	v_dual_mov_b32 v4, v2 :: v_dual_mov_b32 v5, v6
	s_fmamk_f32 s2, s26, 0x4f800000, s2
	v_dual_mov_b32 v8, v3 :: v_dual_mov_b32 v9, v6
	v_dual_mov_b32 v13, v6 :: v_dual_mov_b32 v7, v6
	s_delay_alu instid0(SALU_CYCLE_1) | instskip(NEXT) | instid1(TRANS32_DEP_1)
	v_s_rcp_f32 s2, s2
	s_mul_f32 s2, s2, 0x5f7ffffc
	s_delay_alu instid0(SALU_CYCLE_3) | instskip(NEXT) | instid1(SALU_CYCLE_3)
	s_mul_f32 s26, s2, 0x2f800000
	s_trunc_f32 s26, s26
	s_delay_alu instid0(SALU_CYCLE_3) | instskip(SKIP_1) | instid1(SALU_CYCLE_2)
	s_fmamk_f32 s2, s26, 0xcf800000, s2
	s_cvt_u32_f32 s27, s26
	s_cvt_u32_f32 s26, s2
	s_delay_alu instid0(SALU_CYCLE_3) | instskip(NEXT) | instid1(SALU_CYCLE_1)
	s_mul_u64 s[30:31], s[28:29], s[26:27]
	s_mul_hi_u32 s37, s26, s31
	s_mul_i32 s36, s26, s31
	s_mul_hi_u32 s34, s26, s30
	s_mul_i32 s33, s27, s30
	s_add_nc_u64 s[36:37], s[34:35], s[36:37]
	s_mul_hi_u32 s2, s27, s30
	s_mul_hi_u32 s38, s27, s31
	s_mul_i32 s30, s27, s31
	s_add_co_u32 s31, s36, s33
	s_add_co_ci_u32 s34, s37, s2
	s_add_co_ci_u32 s31, s38, 0
	s_delay_alu instid0(SALU_CYCLE_1) | instskip(NEXT) | instid1(SALU_CYCLE_1)
	s_add_nc_u64 s[30:31], s[34:35], s[30:31]
	s_add_co_u32 s26, s26, s30
	s_cselect_b32 s2, -1, 0
	s_delay_alu instid0(SALU_CYCLE_1) | instskip(SKIP_1) | instid1(SALU_CYCLE_1)
	s_cmp_lg_u32 s2, 0
	s_add_co_ci_u32 s27, s27, s31
	s_mul_u64 s[28:29], s[28:29], s[26:27]
	s_delay_alu instid0(SALU_CYCLE_1)
	s_mul_hi_u32 s31, s26, s29
	s_mul_i32 s30, s26, s29
	s_mul_hi_u32 s34, s26, s28
	s_mul_i32 s33, s27, s28
	s_add_nc_u64 s[30:31], s[34:35], s[30:31]
	s_mul_hi_u32 s2, s27, s28
	s_mul_hi_u32 s36, s27, s29
	s_mul_i32 s28, s27, s29
	s_add_co_u32 s29, s30, s33
	s_add_co_ci_u32 s34, s31, s2
	s_add_co_ci_u32 s29, s36, 0
	s_delay_alu instid0(SALU_CYCLE_1) | instskip(NEXT) | instid1(SALU_CYCLE_1)
	s_add_nc_u64 s[28:29], s[34:35], s[28:29]
	s_add_co_u32 s2, s26, s28
	s_cselect_b32 s26, -1, 0
	v_nop
	v_mul_hi_u32 v12, v2, s2
	s_cmp_lg_u32 s26, 0
	s_add_co_ci_u32 s34, s27, s29
	s_mov_b64 s[26:27], 0xffffffff
	v_mul_u64_e32 v[4:5], s[34:35], v[4:5]
	s_and_b64 s[26:27], s[2:3], s[26:27]
	s_delay_alu instid0(SALU_CYCLE_1) | instskip(SKIP_1) | instid1(VALU_DEP_3)
	v_mul_u64_e32 v[10:11], s[26:27], v[8:9]
	v_mul_u64_e32 v[8:9], s[34:35], v[8:9]
	v_add_nc_u64_e32 v[4:5], v[12:13], v[4:5]
	s_delay_alu instid0(VALU_DEP_1) | instskip(NEXT) | instid1(VALU_DEP_2)
	v_add_co_u32 v4, vcc_lo, v4, v10
	v_add_co_ci_u32_e32 v6, vcc_lo, v5, v11, vcc_lo
	s_delay_alu instid0(VALU_DEP_4) | instskip(NEXT) | instid1(VALU_DEP_1)
	v_add_co_ci_u32_e32 v9, vcc_lo, 0, v9, vcc_lo
	v_add_nc_u64_e32 v[4:5], v[6:7], v[8:9]
	s_delay_alu instid0(VALU_DEP_1) | instskip(NEXT) | instid1(VALU_DEP_1)
	v_mul_u64_e32 v[6:7], s[20:21], v[4:5]
	v_sub_nc_u32_e32 v8, v3, v7
	s_delay_alu instid0(VALU_DEP_2) | instskip(NEXT) | instid1(VALU_DEP_1)
	v_sub_co_u32 v2, vcc_lo, v2, v6
	v_sub_co_ci_u32_e64 v7, null, v3, v7, vcc_lo
	s_delay_alu instid0(VALU_DEP_3) | instskip(NEXT) | instid1(VALU_DEP_3)
	v_subrev_co_ci_u32_e64 v6, null, s21, v8, vcc_lo
	v_sub_co_u32 v10, s2, v2, s20
	v_cmp_le_u32_e32 vcc_lo, s20, v2
	s_delay_alu instid0(VALU_DEP_3) | instskip(NEXT) | instid1(VALU_DEP_3)
	v_subrev_co_ci_u32_e64 v6, null, 0, v6, s2
	v_cmp_le_u32_e64 s2, s20, v10
	v_add_nc_u64_e32 v[8:9], 2, v[4:5]
	v_cndmask_b32_e64 v12, 0, -1, vcc_lo
	s_delay_alu instid0(VALU_DEP_4) | instskip(SKIP_3) | instid1(VALU_DEP_1)
	v_cmp_eq_u32_e32 vcc_lo, s21, v6
	v_add_nc_u64_e32 v[2:3], 1, v[4:5]
	v_cndmask_b32_e64 v10, 0, -1, s2
	v_cmp_le_u32_e64 s2, s21, v6
	v_cndmask_b32_e64 v11, 0, -1, s2
	v_cmp_eq_u32_e64 s2, s21, v7
	s_delay_alu instid0(VALU_DEP_2) | instskip(SKIP_2) | instid1(VALU_DEP_3)
	v_cndmask_b32_e32 v6, v11, v10, vcc_lo
	v_cmp_le_u32_e32 vcc_lo, s21, v7
	v_cndmask_b32_e64 v10, 0, -1, vcc_lo
	v_cmp_ne_u32_e32 vcc_lo, 0, v6
	s_delay_alu instid0(VALU_DEP_2) | instskip(SKIP_1) | instid1(VALU_DEP_2)
	v_cndmask_b32_e64 v6, v10, v12, s2
	v_dual_cndmask_b32 v2, v2, v8 :: v_dual_cndmask_b32 v3, v3, v9
	v_cmp_ne_u32_e32 vcc_lo, 0, v6
	s_delay_alu instid0(VALU_DEP_2)
	v_dual_cndmask_b32 v4, v4, v2 :: v_dual_cndmask_b32 v5, v5, v3
                                        ; implicit-def: $vgpr2_vgpr3
.LBB17_7:
	s_and_not1_saveexec_b32 s2, s3
	s_cbranch_execz .LBB17_9
; %bb.8:
	v_cvt_f32_u32_e32 v3, s20
	s_sub_co_i32 s3, 0, s20
	s_delay_alu instid0(VALU_DEP_1) | instskip(SKIP_1) | instid1(TRANS32_DEP_1)
	v_rcp_iflag_f32_e32 v3, v3
	v_nop
	v_mul_f32_e32 v3, 0x4f7ffffe, v3
	s_delay_alu instid0(VALU_DEP_1) | instskip(NEXT) | instid1(VALU_DEP_1)
	v_cvt_u32_f32_e32 v3, v3
	v_mul_lo_u32 v4, s3, v3
	s_delay_alu instid0(VALU_DEP_1) | instskip(NEXT) | instid1(VALU_DEP_1)
	v_mul_hi_u32 v4, v3, v4
	v_add_nc_u32_e32 v3, v3, v4
	s_delay_alu instid0(VALU_DEP_1) | instskip(NEXT) | instid1(VALU_DEP_1)
	v_mul_hi_u32 v3, v2, v3
	v_mul_lo_u32 v4, v3, s20
	s_delay_alu instid0(VALU_DEP_1) | instskip(NEXT) | instid1(VALU_DEP_1)
	v_dual_sub_nc_u32 v2, v2, v4 :: v_dual_add_nc_u32 v4, 1, v3
	v_subrev_nc_u32_e32 v5, s20, v2
	v_cmp_le_u32_e32 vcc_lo, s20, v2
	s_delay_alu instid0(VALU_DEP_2) | instskip(NEXT) | instid1(VALU_DEP_4)
	v_dual_cndmask_b32 v2, v2, v5 :: v_dual_mov_b32 v5, 0
	v_cndmask_b32_e32 v3, v3, v4, vcc_lo
	s_delay_alu instid0(VALU_DEP_2) | instskip(NEXT) | instid1(VALU_DEP_2)
	v_cmp_le_u32_e32 vcc_lo, s20, v2
	v_add_nc_u32_e32 v4, 1, v3
	s_delay_alu instid0(VALU_DEP_1)
	v_cndmask_b32_e32 v4, v3, v4, vcc_lo
.LBB17_9:
	s_or_b32 exec_lo, exec_lo, s2
	s_delay_alu instid0(VALU_DEP_1) | instskip(SKIP_1) | instid1(VALU_DEP_1)
	v_dual_mov_b32 v6, 0 :: v_dual_bitop2_b32 v7, s17, v5 bitop3:0x54
                                        ; implicit-def: $vgpr2_vgpr3
	s_mov_b32 s2, exec_lo
	v_cmpx_ne_u64_e32 0, v[6:7]
	s_xor_b32 s3, exec_lo, s2
	s_cbranch_execz .LBB17_11
; %bb.10:
	s_cvt_f32_u32 s2, s16
	s_cvt_f32_u32 s26, s17
	s_sub_nc_u64 s[28:29], 0, s[16:17]
	s_mov_b32 s35, 0
	v_dual_mov_b32 v2, v4 :: v_dual_mov_b32 v3, v6
	s_fmamk_f32 s2, s26, 0x4f800000, s2
	v_dual_mov_b32 v8, v5 :: v_dual_mov_b32 v9, v6
	v_dual_mov_b32 v13, v6 :: v_dual_mov_b32 v7, v6
	s_delay_alu instid0(SALU_CYCLE_1) | instskip(NEXT) | instid1(TRANS32_DEP_1)
	v_s_rcp_f32 s2, s2
	s_mul_f32 s2, s2, 0x5f7ffffc
	s_delay_alu instid0(SALU_CYCLE_3) | instskip(NEXT) | instid1(SALU_CYCLE_3)
	s_mul_f32 s26, s2, 0x2f800000
	s_trunc_f32 s26, s26
	s_delay_alu instid0(SALU_CYCLE_3) | instskip(SKIP_1) | instid1(SALU_CYCLE_2)
	s_fmamk_f32 s2, s26, 0xcf800000, s2
	s_cvt_u32_f32 s27, s26
	s_cvt_u32_f32 s26, s2
	s_delay_alu instid0(SALU_CYCLE_3) | instskip(NEXT) | instid1(SALU_CYCLE_1)
	s_mul_u64 s[30:31], s[28:29], s[26:27]
	s_mul_hi_u32 s37, s26, s31
	s_mul_i32 s36, s26, s31
	s_mul_hi_u32 s34, s26, s30
	s_mul_i32 s33, s27, s30
	s_add_nc_u64 s[36:37], s[34:35], s[36:37]
	s_mul_hi_u32 s2, s27, s30
	s_mul_hi_u32 s38, s27, s31
	s_mul_i32 s30, s27, s31
	s_add_co_u32 s31, s36, s33
	s_add_co_ci_u32 s34, s37, s2
	s_add_co_ci_u32 s31, s38, 0
	s_delay_alu instid0(SALU_CYCLE_1) | instskip(NEXT) | instid1(SALU_CYCLE_1)
	s_add_nc_u64 s[30:31], s[34:35], s[30:31]
	s_add_co_u32 s26, s26, s30
	s_cselect_b32 s2, -1, 0
	s_delay_alu instid0(SALU_CYCLE_1) | instskip(SKIP_1) | instid1(SALU_CYCLE_1)
	s_cmp_lg_u32 s2, 0
	s_add_co_ci_u32 s27, s27, s31
	s_mul_u64 s[28:29], s[28:29], s[26:27]
	s_delay_alu instid0(SALU_CYCLE_1)
	s_mul_hi_u32 s31, s26, s29
	s_mul_i32 s30, s26, s29
	s_mul_hi_u32 s34, s26, s28
	s_mul_i32 s33, s27, s28
	s_add_nc_u64 s[30:31], s[34:35], s[30:31]
	s_mul_hi_u32 s2, s27, s28
	s_mul_hi_u32 s36, s27, s29
	s_mul_i32 s28, s27, s29
	s_add_co_u32 s29, s30, s33
	s_add_co_ci_u32 s34, s31, s2
	s_add_co_ci_u32 s29, s36, 0
	s_delay_alu instid0(SALU_CYCLE_1) | instskip(NEXT) | instid1(SALU_CYCLE_1)
	s_add_nc_u64 s[28:29], s[34:35], s[28:29]
	s_add_co_u32 s2, s26, s28
	s_cselect_b32 s26, -1, 0
	v_nop
	v_mul_hi_u32 v12, v4, s2
	s_cmp_lg_u32 s26, 0
	s_add_co_ci_u32 s34, s27, s29
	s_mov_b64 s[26:27], 0xffffffff
	v_mul_u64_e32 v[2:3], s[34:35], v[2:3]
	s_and_b64 s[26:27], s[2:3], s[26:27]
	s_delay_alu instid0(SALU_CYCLE_1) | instskip(SKIP_1) | instid1(VALU_DEP_3)
	v_mul_u64_e32 v[10:11], s[26:27], v[8:9]
	v_mul_u64_e32 v[8:9], s[34:35], v[8:9]
	v_add_nc_u64_e32 v[2:3], v[12:13], v[2:3]
	s_delay_alu instid0(VALU_DEP_1) | instskip(NEXT) | instid1(VALU_DEP_2)
	v_add_co_u32 v2, vcc_lo, v2, v10
	v_add_co_ci_u32_e32 v6, vcc_lo, v3, v11, vcc_lo
	s_delay_alu instid0(VALU_DEP_4) | instskip(NEXT) | instid1(VALU_DEP_1)
	v_add_co_ci_u32_e32 v9, vcc_lo, 0, v9, vcc_lo
	v_add_nc_u64_e32 v[2:3], v[6:7], v[8:9]
	s_delay_alu instid0(VALU_DEP_1) | instskip(NEXT) | instid1(VALU_DEP_1)
	v_mul_u64_e32 v[2:3], s[16:17], v[2:3]
	v_sub_nc_u32_e32 v6, v5, v3
	s_delay_alu instid0(VALU_DEP_2) | instskip(NEXT) | instid1(VALU_DEP_1)
	v_sub_co_u32 v2, vcc_lo, v4, v2
	v_sub_co_ci_u32_e64 v3, null, v5, v3, vcc_lo
	s_delay_alu instid0(VALU_DEP_3) | instskip(NEXT) | instid1(VALU_DEP_3)
	v_subrev_co_ci_u32_e64 v4, null, s17, v6, vcc_lo
	v_sub_co_u32 v5, vcc_lo, v2, s16
	v_cmp_le_u32_e64 s2, s16, v2
	s_delay_alu instid0(VALU_DEP_3) | instskip(SKIP_1) | instid1(VALU_DEP_3)
	v_subrev_co_ci_u32_e64 v6, null, 0, v4, vcc_lo
	v_subrev_co_ci_u32_e64 v4, null, s17, v4, vcc_lo
	v_cndmask_b32_e64 v7, 0, -1, s2
	v_cmp_le_u32_e64 s2, s16, v5
	v_cmp_le_u32_e32 vcc_lo, s17, v3
	s_delay_alu instid0(VALU_DEP_2) | instskip(SKIP_3) | instid1(VALU_DEP_3)
	v_cndmask_b32_e64 v8, 0, -1, s2
	v_cmp_le_u32_e64 s2, s17, v6
	v_cndmask_b32_e64 v10, 0, -1, vcc_lo
	v_cmp_eq_u32_e32 vcc_lo, s17, v6
	v_cndmask_b32_e64 v9, 0, -1, s2
	s_delay_alu instid0(VALU_DEP_1) | instskip(SKIP_1) | instid1(VALU_DEP_1)
	v_cndmask_b32_e32 v6, v9, v8, vcc_lo
	v_sub_co_u32 v8, vcc_lo, v5, s16
	v_subrev_co_ci_u32_e64 v4, null, 0, v4, vcc_lo
	v_cmp_eq_u32_e32 vcc_lo, s17, v3
	v_cndmask_b32_e32 v3, v10, v7, vcc_lo
	v_cmp_ne_u32_e32 vcc_lo, 0, v6
	v_cndmask_b32_e32 v4, v5, v8, vcc_lo
	s_delay_alu instid0(VALU_DEP_3) | instskip(NEXT) | instid1(VALU_DEP_2)
	v_cmp_ne_u32_e32 vcc_lo, 0, v3
	v_cndmask_b32_e32 v2, v2, v4, vcc_lo
                                        ; implicit-def: $vgpr4_vgpr5
.LBB17_11:
	s_and_not1_saveexec_b32 s2, s3
	s_cbranch_execz .LBB17_13
; %bb.12:
	v_cvt_f32_u32_e32 v2, s16
	s_sub_co_i32 s3, 0, s16
	s_delay_alu instid0(VALU_DEP_1) | instskip(SKIP_1) | instid1(TRANS32_DEP_1)
	v_rcp_iflag_f32_e32 v2, v2
	v_nop
	v_mul_f32_e32 v2, 0x4f7ffffe, v2
	s_delay_alu instid0(VALU_DEP_1) | instskip(NEXT) | instid1(VALU_DEP_1)
	v_cvt_u32_f32_e32 v2, v2
	v_mul_lo_u32 v3, s3, v2
	s_delay_alu instid0(VALU_DEP_1) | instskip(NEXT) | instid1(VALU_DEP_1)
	v_mul_hi_u32 v3, v2, v3
	v_add_nc_u32_e32 v2, v2, v3
	s_delay_alu instid0(VALU_DEP_1) | instskip(NEXT) | instid1(VALU_DEP_1)
	v_mul_hi_u32 v2, v4, v2
	v_mul_lo_u32 v2, v2, s16
	s_delay_alu instid0(VALU_DEP_1) | instskip(NEXT) | instid1(VALU_DEP_1)
	v_sub_nc_u32_e32 v2, v4, v2
	v_subrev_nc_u32_e32 v3, s16, v2
	v_cmp_le_u32_e32 vcc_lo, s16, v2
	s_delay_alu instid0(VALU_DEP_2) | instskip(NEXT) | instid1(VALU_DEP_1)
	v_cndmask_b32_e32 v2, v2, v3, vcc_lo
	v_subrev_nc_u32_e32 v3, s16, v2
	v_cmp_le_u32_e32 vcc_lo, s16, v2
	s_delay_alu instid0(VALU_DEP_2)
	v_cndmask_b32_e32 v2, v2, v3, vcc_lo
.LBB17_13:
	s_or_b32 exec_lo, exec_lo, s2
	v_dual_mov_b32 v6, 0 :: v_dual_bitop2_b32 v7, s21, v1 bitop3:0x54
                                        ; implicit-def: $vgpr4_vgpr5
	s_mov_b32 s2, exec_lo
	s_delay_alu instid0(VALU_DEP_1)
	v_cmpx_ne_u64_e32 0, v[6:7]
	s_xor_b32 s3, exec_lo, s2
	s_cbranch_execz .LBB17_15
; %bb.14:
	s_cvt_f32_u32 s2, s20
	s_cvt_f32_u32 s16, s21
	s_sub_nc_u64 s[26:27], 0, s[20:21]
	s_mov_b32 s31, 0
	v_dual_mov_b32 v4, v0 :: v_dual_mov_b32 v5, v6
	s_fmamk_f32 s2, s16, 0x4f800000, s2
	v_dual_mov_b32 v8, v1 :: v_dual_mov_b32 v9, v6
	v_dual_mov_b32 v13, v6 :: v_dual_mov_b32 v7, v6
	s_delay_alu instid0(SALU_CYCLE_1) | instskip(NEXT) | instid1(TRANS32_DEP_1)
	v_s_rcp_f32 s2, s2
	s_mul_f32 s2, s2, 0x5f7ffffc
	s_delay_alu instid0(SALU_CYCLE_3) | instskip(NEXT) | instid1(SALU_CYCLE_3)
	s_mul_f32 s16, s2, 0x2f800000
	s_trunc_f32 s16, s16
	s_delay_alu instid0(SALU_CYCLE_3) | instskip(SKIP_1) | instid1(SALU_CYCLE_2)
	s_fmamk_f32 s2, s16, 0xcf800000, s2
	s_cvt_u32_f32 s17, s16
	s_cvt_u32_f32 s16, s2
	s_delay_alu instid0(SALU_CYCLE_3) | instskip(NEXT) | instid1(SALU_CYCLE_1)
	s_mul_u64 s[28:29], s[26:27], s[16:17]
	s_mul_hi_u32 s35, s16, s29
	s_mul_i32 s34, s16, s29
	s_mul_hi_u32 s30, s16, s28
	s_mul_i32 s33, s17, s28
	s_add_nc_u64 s[34:35], s[30:31], s[34:35]
	s_mul_hi_u32 s2, s17, s28
	s_mul_hi_u32 s36, s17, s29
	s_mul_i32 s28, s17, s29
	s_add_co_u32 s29, s34, s33
	s_add_co_ci_u32 s30, s35, s2
	s_add_co_ci_u32 s29, s36, 0
	s_delay_alu instid0(SALU_CYCLE_1) | instskip(NEXT) | instid1(SALU_CYCLE_1)
	s_add_nc_u64 s[28:29], s[30:31], s[28:29]
	s_add_co_u32 s16, s16, s28
	s_cselect_b32 s2, -1, 0
	s_delay_alu instid0(SALU_CYCLE_1) | instskip(SKIP_1) | instid1(SALU_CYCLE_1)
	s_cmp_lg_u32 s2, 0
	s_add_co_ci_u32 s17, s17, s29
	s_mul_u64 s[26:27], s[26:27], s[16:17]
	s_delay_alu instid0(SALU_CYCLE_1)
	s_mul_hi_u32 s29, s16, s27
	s_mul_i32 s28, s16, s27
	s_mul_hi_u32 s30, s16, s26
	s_mul_i32 s33, s17, s26
	s_add_nc_u64 s[28:29], s[30:31], s[28:29]
	s_mul_hi_u32 s2, s17, s26
	s_mul_hi_u32 s34, s17, s27
	s_mul_i32 s26, s17, s27
	s_add_co_u32 s27, s28, s33
	s_add_co_ci_u32 s30, s29, s2
	s_add_co_ci_u32 s27, s34, 0
	s_delay_alu instid0(SALU_CYCLE_1) | instskip(NEXT) | instid1(SALU_CYCLE_1)
	s_add_nc_u64 s[26:27], s[30:31], s[26:27]
	s_add_co_u32 s2, s16, s26
	s_cselect_b32 s16, -1, 0
	v_nop
	v_mul_hi_u32 v12, v0, s2
	s_cmp_lg_u32 s16, 0
	s_add_co_ci_u32 s30, s17, s27
	s_mov_b64 s[16:17], 0xffffffff
	v_mul_u64_e32 v[4:5], s[30:31], v[4:5]
	s_and_b64 s[16:17], s[2:3], s[16:17]
	s_delay_alu instid0(SALU_CYCLE_1) | instskip(SKIP_1) | instid1(VALU_DEP_3)
	v_mul_u64_e32 v[10:11], s[16:17], v[8:9]
	v_mul_u64_e32 v[8:9], s[30:31], v[8:9]
	v_add_nc_u64_e32 v[4:5], v[12:13], v[4:5]
	s_delay_alu instid0(VALU_DEP_1) | instskip(NEXT) | instid1(VALU_DEP_2)
	v_add_co_u32 v3, vcc_lo, v4, v10
	v_add_co_ci_u32_e32 v6, vcc_lo, v5, v11, vcc_lo
	s_delay_alu instid0(VALU_DEP_4) | instskip(NEXT) | instid1(VALU_DEP_1)
	v_add_co_ci_u32_e32 v9, vcc_lo, 0, v9, vcc_lo
	v_add_nc_u64_e32 v[4:5], v[6:7], v[8:9]
	s_delay_alu instid0(VALU_DEP_1) | instskip(SKIP_1) | instid1(VALU_DEP_2)
	v_mul_u64_e32 v[6:7], s[20:21], v[4:5]
	v_add_nc_u64_e32 v[8:9], 2, v[4:5]
	v_sub_nc_u32_e32 v3, v1, v7
	s_delay_alu instid0(VALU_DEP_3) | instskip(NEXT) | instid1(VALU_DEP_1)
	v_sub_co_u32 v6, vcc_lo, v0, v6
	v_sub_co_ci_u32_e64 v12, null, v1, v7, vcc_lo
	s_delay_alu instid0(VALU_DEP_3) | instskip(NEXT) | instid1(VALU_DEP_3)
	v_subrev_co_ci_u32_e64 v3, null, s21, v3, vcc_lo
	v_sub_co_u32 v10, s2, v6, s20
	v_cmp_le_u32_e32 vcc_lo, s20, v6
	s_delay_alu instid0(VALU_DEP_3) | instskip(NEXT) | instid1(VALU_DEP_3)
	v_subrev_co_ci_u32_e64 v3, null, 0, v3, s2
	v_cmp_le_u32_e64 s2, s20, v10
	v_add_nc_u64_e32 v[6:7], 1, v[4:5]
	v_cndmask_b32_e64 v13, 0, -1, vcc_lo
	s_delay_alu instid0(VALU_DEP_4) | instskip(NEXT) | instid1(VALU_DEP_4)
	v_cmp_eq_u32_e32 vcc_lo, s21, v3
	v_cndmask_b32_e64 v10, 0, -1, s2
	v_cmp_le_u32_e64 s2, s21, v3
	s_delay_alu instid0(VALU_DEP_1) | instskip(SKIP_1) | instid1(VALU_DEP_2)
	v_cndmask_b32_e64 v11, 0, -1, s2
	v_cmp_eq_u32_e64 s2, s21, v12
	v_cndmask_b32_e32 v3, v11, v10, vcc_lo
	v_cmp_le_u32_e32 vcc_lo, s21, v12
	v_cndmask_b32_e64 v10, 0, -1, vcc_lo
	s_delay_alu instid0(VALU_DEP_3) | instskip(SKIP_1) | instid1(VALU_DEP_3)
	v_cmp_ne_u32_e32 vcc_lo, 0, v3
	v_cndmask_b32_e32 v7, v7, v9, vcc_lo
	v_cndmask_b32_e64 v3, v10, v13, s2
	v_cndmask_b32_e32 v6, v6, v8, vcc_lo
	s_delay_alu instid0(VALU_DEP_2) | instskip(NEXT) | instid1(VALU_DEP_2)
	v_cmp_ne_u32_e32 vcc_lo, 0, v3
	v_dual_cndmask_b32 v5, v5, v7 :: v_dual_cndmask_b32 v4, v4, v6
.LBB17_15:
	s_and_not1_saveexec_b32 s2, s3
	s_cbranch_execz .LBB17_17
; %bb.16:
	v_cvt_f32_u32_e32 v3, s20
	s_sub_co_i32 s3, 0, s20
	s_delay_alu instid0(VALU_DEP_1) | instskip(SKIP_1) | instid1(TRANS32_DEP_1)
	v_rcp_iflag_f32_e32 v3, v3
	v_nop
	v_mul_f32_e32 v3, 0x4f7ffffe, v3
	s_delay_alu instid0(VALU_DEP_1) | instskip(NEXT) | instid1(VALU_DEP_1)
	v_cvt_u32_f32_e32 v3, v3
	v_mul_lo_u32 v4, s3, v3
	s_delay_alu instid0(VALU_DEP_1) | instskip(NEXT) | instid1(VALU_DEP_1)
	v_mul_hi_u32 v4, v3, v4
	v_add_nc_u32_e32 v3, v3, v4
	s_delay_alu instid0(VALU_DEP_1) | instskip(NEXT) | instid1(VALU_DEP_1)
	v_mul_hi_u32 v3, v0, v3
	v_mul_lo_u32 v4, v3, s20
	s_delay_alu instid0(VALU_DEP_1) | instskip(NEXT) | instid1(VALU_DEP_1)
	v_dual_add_nc_u32 v5, 1, v3 :: v_dual_sub_nc_u32 v4, v0, v4
	v_subrev_nc_u32_e32 v6, s20, v4
	v_cmp_le_u32_e32 vcc_lo, s20, v4
	s_delay_alu instid0(VALU_DEP_2) | instskip(NEXT) | instid1(VALU_DEP_1)
	v_dual_cndmask_b32 v4, v4, v6 :: v_dual_cndmask_b32 v3, v3, v5
	v_cmp_le_u32_e32 vcc_lo, s20, v4
	s_delay_alu instid0(VALU_DEP_2) | instskip(NEXT) | instid1(VALU_DEP_1)
	v_add_nc_u32_e32 v5, 1, v3
	v_dual_cndmask_b32 v4, v3, v5 :: v_dual_mov_b32 v5, 0
.LBB17_17:
	s_or_b32 exec_lo, exec_lo, s2
	s_delay_alu instid0(VALU_DEP_1) | instskip(SKIP_1) | instid1(VALU_DEP_1)
	v_dual_mov_b32 v8, 0 :: v_dual_bitop2_b32 v9, s19, v5 bitop3:0x54
                                        ; implicit-def: $vgpr6_vgpr7
	s_mov_b32 s2, exec_lo
	v_cmpx_ne_u64_e32 0, v[8:9]
	s_xor_b32 s3, exec_lo, s2
	s_cbranch_execnz .LBB17_20
; %bb.18:
	s_and_not1_saveexec_b32 s2, s3
	s_cbranch_execnz .LBB17_21
.LBB17_19:
	s_or_b32 exec_lo, exec_lo, s2
	s_cmp_eq_u64 s[6:7], 0
	s_cbranch_scc0 .LBB17_22
	s_branch .LBB17_44
.LBB17_20:
	s_cvt_f32_u32 s2, s18
	s_cvt_f32_u32 s16, s19
	s_sub_nc_u64 s[26:27], 0, s[18:19]
	s_mov_b32 s31, 0
	v_dual_mov_b32 v6, v4 :: v_dual_mov_b32 v7, v8
	s_fmamk_f32 s2, s16, 0x4f800000, s2
	v_dual_mov_b32 v10, v5 :: v_dual_mov_b32 v11, v8
	v_dual_mov_b32 v15, v8 :: v_dual_mov_b32 v9, v8
	s_delay_alu instid0(SALU_CYCLE_1) | instskip(NEXT) | instid1(TRANS32_DEP_1)
	v_s_rcp_f32 s2, s2
	s_mul_f32 s2, s2, 0x5f7ffffc
	s_delay_alu instid0(SALU_CYCLE_3) | instskip(NEXT) | instid1(SALU_CYCLE_3)
	s_mul_f32 s16, s2, 0x2f800000
	s_trunc_f32 s16, s16
	s_delay_alu instid0(SALU_CYCLE_3) | instskip(SKIP_1) | instid1(SALU_CYCLE_2)
	s_fmamk_f32 s2, s16, 0xcf800000, s2
	s_cvt_u32_f32 s17, s16
	s_cvt_u32_f32 s16, s2
	s_delay_alu instid0(SALU_CYCLE_3) | instskip(NEXT) | instid1(SALU_CYCLE_1)
	s_mul_u64 s[28:29], s[26:27], s[16:17]
	s_mul_hi_u32 s35, s16, s29
	s_mul_i32 s34, s16, s29
	s_mul_hi_u32 s30, s16, s28
	s_mul_i32 s33, s17, s28
	s_add_nc_u64 s[34:35], s[30:31], s[34:35]
	s_mul_hi_u32 s2, s17, s28
	s_mul_hi_u32 s36, s17, s29
	s_mul_i32 s28, s17, s29
	s_add_co_u32 s29, s34, s33
	s_add_co_ci_u32 s30, s35, s2
	s_add_co_ci_u32 s29, s36, 0
	s_delay_alu instid0(SALU_CYCLE_1) | instskip(NEXT) | instid1(SALU_CYCLE_1)
	s_add_nc_u64 s[28:29], s[30:31], s[28:29]
	s_add_co_u32 s16, s16, s28
	s_cselect_b32 s2, -1, 0
	s_delay_alu instid0(SALU_CYCLE_1) | instskip(SKIP_1) | instid1(SALU_CYCLE_1)
	s_cmp_lg_u32 s2, 0
	s_add_co_ci_u32 s17, s17, s29
	s_mul_u64 s[26:27], s[26:27], s[16:17]
	s_delay_alu instid0(SALU_CYCLE_1)
	s_mul_hi_u32 s29, s16, s27
	s_mul_i32 s28, s16, s27
	s_mul_hi_u32 s30, s16, s26
	s_mul_i32 s33, s17, s26
	s_add_nc_u64 s[28:29], s[30:31], s[28:29]
	s_mul_hi_u32 s2, s17, s26
	s_mul_hi_u32 s34, s17, s27
	s_mul_i32 s26, s17, s27
	s_add_co_u32 s27, s28, s33
	s_add_co_ci_u32 s30, s29, s2
	s_add_co_ci_u32 s27, s34, 0
	s_delay_alu instid0(SALU_CYCLE_1) | instskip(NEXT) | instid1(SALU_CYCLE_1)
	s_add_nc_u64 s[26:27], s[30:31], s[26:27]
	s_add_co_u32 s2, s16, s26
	s_cselect_b32 s16, -1, 0
	v_nop
	v_mul_hi_u32 v14, v4, s2
	s_cmp_lg_u32 s16, 0
	s_add_co_ci_u32 s30, s17, s27
	s_mov_b64 s[16:17], 0xffffffff
	v_mul_u64_e32 v[6:7], s[30:31], v[6:7]
	s_and_b64 s[16:17], s[2:3], s[16:17]
	s_delay_alu instid0(SALU_CYCLE_1) | instskip(SKIP_1) | instid1(VALU_DEP_3)
	v_mul_u64_e32 v[12:13], s[16:17], v[10:11]
	v_mul_u64_e32 v[10:11], s[30:31], v[10:11]
	v_add_nc_u64_e32 v[6:7], v[14:15], v[6:7]
	s_delay_alu instid0(VALU_DEP_1) | instskip(NEXT) | instid1(VALU_DEP_2)
	v_add_co_u32 v3, vcc_lo, v6, v12
	v_add_co_ci_u32_e32 v8, vcc_lo, v7, v13, vcc_lo
	s_delay_alu instid0(VALU_DEP_4) | instskip(NEXT) | instid1(VALU_DEP_1)
	v_add_co_ci_u32_e32 v11, vcc_lo, 0, v11, vcc_lo
	v_add_nc_u64_e32 v[6:7], v[8:9], v[10:11]
	s_delay_alu instid0(VALU_DEP_1) | instskip(NEXT) | instid1(VALU_DEP_1)
	v_mul_u64_e32 v[6:7], s[18:19], v[6:7]
	v_sub_nc_u32_e32 v3, v5, v7
	s_delay_alu instid0(VALU_DEP_2) | instskip(NEXT) | instid1(VALU_DEP_1)
	v_sub_co_u32 v6, vcc_lo, v4, v6
	v_sub_co_ci_u32_e64 v5, null, v5, v7, vcc_lo
	s_delay_alu instid0(VALU_DEP_3) | instskip(NEXT) | instid1(VALU_DEP_3)
	v_subrev_co_ci_u32_e64 v3, null, s19, v3, vcc_lo
	v_sub_co_u32 v7, vcc_lo, v6, s18
	v_cmp_le_u32_e64 s2, s18, v6
	s_delay_alu instid0(VALU_DEP_3) | instskip(SKIP_1) | instid1(VALU_DEP_3)
	v_subrev_co_ci_u32_e64 v8, null, 0, v3, vcc_lo
	v_subrev_co_ci_u32_e64 v3, null, s19, v3, vcc_lo
	v_cndmask_b32_e64 v9, 0, -1, s2
	v_cmp_le_u32_e64 s2, s18, v7
	v_cmp_le_u32_e32 vcc_lo, s19, v5
	s_delay_alu instid0(VALU_DEP_2) | instskip(SKIP_3) | instid1(VALU_DEP_3)
	v_cndmask_b32_e64 v10, 0, -1, s2
	v_cmp_le_u32_e64 s2, s19, v8
	v_cndmask_b32_e64 v12, 0, -1, vcc_lo
	v_cmp_eq_u32_e32 vcc_lo, s19, v8
	v_cndmask_b32_e64 v11, 0, -1, s2
	s_delay_alu instid0(VALU_DEP_1) | instskip(SKIP_1) | instid1(VALU_DEP_1)
	v_cndmask_b32_e32 v8, v11, v10, vcc_lo
	v_sub_co_u32 v10, vcc_lo, v7, s18
	v_subrev_co_ci_u32_e64 v3, null, 0, v3, vcc_lo
	v_cmp_eq_u32_e32 vcc_lo, s19, v5
	v_cndmask_b32_e32 v3, v12, v9, vcc_lo
	v_cmp_ne_u32_e32 vcc_lo, 0, v8
	v_cndmask_b32_e32 v5, v7, v10, vcc_lo
	s_delay_alu instid0(VALU_DEP_3) | instskip(NEXT) | instid1(VALU_DEP_2)
	v_cmp_ne_u32_e32 vcc_lo, 0, v3
	v_cndmask_b32_e32 v6, v6, v5, vcc_lo
	s_and_not1_saveexec_b32 s2, s3
	s_cbranch_execz .LBB17_19
.LBB17_21:
	v_cvt_f32_u32_e32 v3, s18
	s_sub_co_i32 s3, 0, s18
	s_delay_alu instid0(VALU_DEP_1) | instskip(SKIP_1) | instid1(TRANS32_DEP_1)
	v_rcp_iflag_f32_e32 v3, v3
	v_nop
	v_mul_f32_e32 v3, 0x4f7ffffe, v3
	s_delay_alu instid0(VALU_DEP_1) | instskip(NEXT) | instid1(VALU_DEP_1)
	v_cvt_u32_f32_e32 v3, v3
	v_mul_lo_u32 v5, s3, v3
	s_delay_alu instid0(VALU_DEP_1) | instskip(NEXT) | instid1(VALU_DEP_1)
	v_mul_hi_u32 v5, v3, v5
	v_add_nc_u32_e32 v3, v3, v5
	s_delay_alu instid0(VALU_DEP_1) | instskip(NEXT) | instid1(VALU_DEP_1)
	v_mul_hi_u32 v3, v4, v3
	v_mul_lo_u32 v3, v3, s18
	s_delay_alu instid0(VALU_DEP_1) | instskip(NEXT) | instid1(VALU_DEP_1)
	v_sub_nc_u32_e32 v3, v4, v3
	v_subrev_nc_u32_e32 v5, s18, v3
	v_cmp_le_u32_e32 vcc_lo, s18, v3
	s_delay_alu instid0(VALU_DEP_2) | instskip(NEXT) | instid1(VALU_DEP_1)
	v_cndmask_b32_e32 v3, v3, v5, vcc_lo
	v_subrev_nc_u32_e32 v5, s18, v3
	v_cmp_le_u32_e32 vcc_lo, s18, v3
	s_delay_alu instid0(VALU_DEP_2)
	v_cndmask_b32_e32 v6, v3, v5, vcc_lo
	s_or_b32 exec_lo, exec_lo, s2
	s_cmp_eq_u64 s[6:7], 0
	s_cbranch_scc1 .LBB17_44
.LBB17_22:
	s_mul_u64 s[16:17], s[24:25], s[20:21]
                                        ; implicit-def: $vgpr10_vgpr11
	s_mov_b32 s2, exec_lo
	v_dual_mov_b32 v8, 0 :: v_dual_bitop2_b32 v9, s17, v1 bitop3:0x54
	s_delay_alu instid0(VALU_DEP_1)
	v_cmpx_ne_u64_e32 0, v[8:9]
	s_xor_b32 s3, exec_lo, s2
	s_cbranch_execz .LBB17_24
; %bb.23:
	s_ashr_i32 s18, s17, 31
	s_mov_b32 s35, 0
	s_mov_b32 s19, s18
	v_dual_mov_b32 v15, v8 :: v_dual_ashrrev_i32 v10, 31, v1
	s_add_nc_u64 s[24:25], s[16:17], s[18:19]
	v_dual_mov_b32 v23, v8 :: v_dual_mov_b32 v9, v8
	s_xor_b64 s[24:25], s[24:25], s[18:19]
	s_delay_alu instid0(VALU_DEP_2) | instskip(SKIP_3) | instid1(VALU_DEP_1)
	v_mov_b32_e32 v11, v10
	s_cvt_f32_u32 s2, s24
	s_cvt_f32_u32 s19, s25
	s_sub_nc_u64 s[28:29], 0, s[24:25]
	v_add_nc_u64_e32 v[12:13], v[0:1], v[10:11]
	s_delay_alu instid0(SALU_CYCLE_1) | instskip(SKIP_1) | instid1(SALU_CYCLE_2)
	s_fmamk_f32 s2, s19, 0x4f800000, s2
	v_mov_b32_e32 v17, v8
	v_s_rcp_f32 s2, s2
	s_delay_alu instid0(VALU_DEP_2) | instskip(NEXT) | instid1(VALU_DEP_3)
	v_xor_b32_e32 v14, v12, v10
	v_xor_b32_e32 v16, v13, v10
	;; [unrolled: 1-line block ×3, first 2 shown]
	s_delay_alu instid0(TRANS32_DEP_1) | instskip(NEXT) | instid1(SALU_CYCLE_3)
	s_mul_f32 s2, s2, 0x5f7ffffc
	s_mul_f32 s19, s2, 0x2f800000
	s_delay_alu instid0(SALU_CYCLE_3) | instskip(NEXT) | instid1(SALU_CYCLE_3)
	s_trunc_f32 s19, s19
	s_fmamk_f32 s2, s19, 0xcf800000, s2
	s_cvt_u32_f32 s27, s19
	s_delay_alu instid0(SALU_CYCLE_2) | instskip(NEXT) | instid1(SALU_CYCLE_3)
	s_cvt_u32_f32 s26, s2
	s_mul_u64 s[30:31], s[28:29], s[26:27]
	s_delay_alu instid0(SALU_CYCLE_1)
	s_mul_hi_u32 s37, s26, s31
	s_mul_i32 s36, s26, s31
	s_mul_hi_u32 s34, s26, s30
	s_mul_i32 s19, s27, s30
	s_add_nc_u64 s[36:37], s[34:35], s[36:37]
	s_mul_hi_u32 s2, s27, s30
	s_mul_hi_u32 s21, s27, s31
	s_add_co_u32 s19, s36, s19
	s_add_co_ci_u32 s34, s37, s2
	s_mul_i32 s30, s27, s31
	s_add_co_ci_u32 s31, s21, 0
	s_delay_alu instid0(SALU_CYCLE_1) | instskip(NEXT) | instid1(SALU_CYCLE_1)
	s_add_nc_u64 s[30:31], s[34:35], s[30:31]
	s_add_co_u32 s26, s26, s30
	s_cselect_b32 s2, -1, 0
	s_delay_alu instid0(SALU_CYCLE_1) | instskip(SKIP_1) | instid1(SALU_CYCLE_1)
	s_cmp_lg_u32 s2, 0
	s_add_co_ci_u32 s27, s27, s31
	s_mul_u64 s[28:29], s[28:29], s[26:27]
	s_delay_alu instid0(SALU_CYCLE_1)
	s_mul_hi_u32 s31, s26, s29
	s_mul_i32 s30, s26, s29
	s_mul_hi_u32 s34, s26, s28
	s_mul_i32 s19, s27, s28
	s_add_nc_u64 s[30:31], s[34:35], s[30:31]
	s_mul_hi_u32 s2, s27, s28
	s_mul_hi_u32 s21, s27, s29
	s_add_co_u32 s19, s30, s19
	s_add_co_ci_u32 s34, s31, s2
	s_mul_i32 s28, s27, s29
	s_add_co_ci_u32 s29, s21, 0
	s_delay_alu instid0(SALU_CYCLE_1) | instskip(NEXT) | instid1(SALU_CYCLE_1)
	s_add_nc_u64 s[28:29], s[34:35], s[28:29]
	s_add_co_u32 s2, s26, s28
	s_cselect_b32 s19, -1, 0
	v_mul_hi_u32 v22, v14, s2
	s_cmp_lg_u32 s19, 0
	s_add_co_ci_u32 s34, s27, s29
	s_mov_b64 s[26:27], 0xffffffff
	v_mul_u64_e32 v[18:19], s[34:35], v[14:15]
	s_and_b64 s[26:27], s[2:3], s[26:27]
	v_mul_u64_e32 v[20:21], s[34:35], v[16:17]
	v_mul_u64_e32 v[12:13], s[26:27], v[16:17]
	s_delay_alu instid0(VALU_DEP_3) | instskip(NEXT) | instid1(VALU_DEP_1)
	v_add_nc_u64_e32 v[18:19], v[22:23], v[18:19]
	v_add_co_u32 v3, vcc_lo, v18, v12
	s_delay_alu instid0(VALU_DEP_2) | instskip(SKIP_1) | instid1(VALU_DEP_1)
	v_add_co_ci_u32_e32 v8, vcc_lo, v19, v13, vcc_lo
	v_add_co_ci_u32_e32 v21, vcc_lo, 0, v21, vcc_lo
	v_add_nc_u64_e32 v[8:9], v[8:9], v[20:21]
	s_delay_alu instid0(VALU_DEP_1) | instskip(NEXT) | instid1(VALU_DEP_1)
	v_mul_u64_e32 v[12:13], s[24:25], v[8:9]
	v_sub_co_u32 v5, vcc_lo, v14, v12
	v_add_nc_u64_e32 v[14:15], 1, v[8:9]
	s_delay_alu instid0(VALU_DEP_3) | instskip(SKIP_1) | instid1(VALU_DEP_4)
	v_sub_nc_u32_e32 v3, v16, v13
	v_sub_co_ci_u32_e64 v11, null, v16, v13, vcc_lo
	v_sub_co_u32 v7, s2, v5, s24
	s_delay_alu instid0(VALU_DEP_3) | instskip(NEXT) | instid1(VALU_DEP_2)
	v_subrev_co_ci_u32_e64 v3, null, s25, v3, vcc_lo
	v_cmp_le_u32_e32 vcc_lo, s24, v7
	s_delay_alu instid0(VALU_DEP_2) | instskip(SKIP_1) | instid1(VALU_DEP_2)
	v_subrev_co_ci_u32_e64 v3, null, 0, v3, s2
	v_cndmask_b32_e64 v7, 0, -1, vcc_lo
	v_cmp_le_u32_e32 vcc_lo, s25, v3
	v_cndmask_b32_e64 v12, 0, -1, vcc_lo
	v_cmp_le_u32_e32 vcc_lo, s24, v5
	;; [unrolled: 2-line block ×3, first 2 shown]
	v_cndmask_b32_e64 v16, 0, -1, vcc_lo
	v_cmp_eq_u32_e32 vcc_lo, s25, v3
	v_cndmask_b32_e32 v3, v12, v7, vcc_lo
	v_cmp_eq_u32_e32 vcc_lo, s25, v11
	v_add_nc_u64_e32 v[12:13], 2, v[8:9]
	v_dual_mov_b32 v11, v10 :: v_dual_cndmask_b32 v5, v16, v5, vcc_lo
	s_delay_alu instid0(VALU_DEP_4) | instskip(NEXT) | instid1(VALU_DEP_2)
	v_cmp_ne_u32_e32 vcc_lo, 0, v3
	v_cmp_ne_u32_e64 s2, 0, v5
	s_delay_alu instid0(VALU_DEP_4) | instskip(NEXT) | instid1(VALU_DEP_1)
	v_dual_cndmask_b32 v3, v15, v13, vcc_lo :: v_dual_cndmask_b32 v5, v14, v12, vcc_lo
	v_dual_cndmask_b32 v3, v9, v3, s2 :: v_dual_cndmask_b32 v5, v8, v5, s2
	s_delay_alu instid0(VALU_DEP_1) | instskip(NEXT) | instid1(VALU_DEP_2)
	v_xor_b32_e32 v9, v3, v10
	v_xor_b32_e32 v8, v5, v10
	s_delay_alu instid0(VALU_DEP_1)
	v_sub_nc_u64_e32 v[10:11], v[8:9], v[10:11]
.LBB17_24:
	s_and_not1_saveexec_b32 s2, s3
	s_cbranch_execz .LBB17_26
; %bb.25:
	v_cvt_f32_u32_e32 v3, s16
	s_sub_co_i32 s3, 0, s16
	v_mov_b32_e32 v11, 0
	s_delay_alu instid0(VALU_DEP_2) | instskip(SKIP_1) | instid1(TRANS32_DEP_1)
	v_rcp_iflag_f32_e32 v3, v3
	v_nop
	v_mul_f32_e32 v3, 0x4f7ffffe, v3
	s_delay_alu instid0(VALU_DEP_1) | instskip(NEXT) | instid1(VALU_DEP_1)
	v_cvt_u32_f32_e32 v3, v3
	v_mul_lo_u32 v5, s3, v3
	s_delay_alu instid0(VALU_DEP_1) | instskip(NEXT) | instid1(VALU_DEP_1)
	v_mul_hi_u32 v5, v3, v5
	v_add_nc_u32_e32 v3, v3, v5
	s_delay_alu instid0(VALU_DEP_1) | instskip(NEXT) | instid1(VALU_DEP_1)
	v_mul_hi_u32 v3, v0, v3
	v_mul_lo_u32 v5, v3, s16
	s_delay_alu instid0(VALU_DEP_1) | instskip(NEXT) | instid1(VALU_DEP_1)
	v_sub_nc_u32_e32 v5, v0, v5
	v_subrev_nc_u32_e32 v8, s16, v5
	v_cmp_le_u32_e32 vcc_lo, s16, v5
	s_delay_alu instid0(VALU_DEP_2) | instskip(NEXT) | instid1(VALU_DEP_1)
	v_dual_add_nc_u32 v7, 1, v3 :: v_dual_cndmask_b32 v5, v5, v8, vcc_lo
	v_cndmask_b32_e32 v3, v3, v7, vcc_lo
	s_delay_alu instid0(VALU_DEP_2) | instskip(NEXT) | instid1(VALU_DEP_2)
	v_cmp_le_u32_e32 vcc_lo, s16, v5
	v_add_nc_u32_e32 v7, 1, v3
	s_delay_alu instid0(VALU_DEP_1)
	v_cndmask_b32_e32 v10, v3, v7, vcc_lo
.LBB17_26:
	s_or_b32 exec_lo, exec_lo, s2
	s_delay_alu instid0(VALU_DEP_1) | instskip(SKIP_1) | instid1(VALU_DEP_1)
	v_dual_mov_b32 v12, 0 :: v_dual_bitop2_b32 v13, s9, v11 bitop3:0x54
                                        ; implicit-def: $vgpr8_vgpr9
	s_mov_b32 s2, exec_lo
	v_cmpx_ne_u64_e32 0, v[12:13]
	s_xor_b32 s3, exec_lo, s2
	s_cbranch_execz .LBB17_28
; %bb.27:
	s_cvt_f32_u32 s2, s8
	s_cvt_f32_u32 s18, s9
	s_sub_nc_u64 s[24:25], 0, s[8:9]
	s_mov_b32 s29, 0
	v_dual_mov_b32 v8, v10 :: v_dual_mov_b32 v9, v12
	s_fmamk_f32 s2, s18, 0x4f800000, s2
	v_dual_mov_b32 v14, v11 :: v_dual_mov_b32 v15, v12
	v_dual_mov_b32 v19, v12 :: v_dual_mov_b32 v13, v12
	s_delay_alu instid0(SALU_CYCLE_1) | instskip(NEXT) | instid1(TRANS32_DEP_1)
	v_s_rcp_f32 s2, s2
	s_mul_f32 s2, s2, 0x5f7ffffc
	s_delay_alu instid0(SALU_CYCLE_3) | instskip(NEXT) | instid1(SALU_CYCLE_3)
	s_mul_f32 s18, s2, 0x2f800000
	s_trunc_f32 s18, s18
	s_delay_alu instid0(SALU_CYCLE_3) | instskip(SKIP_1) | instid1(SALU_CYCLE_2)
	s_fmamk_f32 s2, s18, 0xcf800000, s2
	s_cvt_u32_f32 s19, s18
	s_cvt_u32_f32 s18, s2
	s_delay_alu instid0(SALU_CYCLE_3) | instskip(NEXT) | instid1(SALU_CYCLE_1)
	s_mul_u64 s[26:27], s[24:25], s[18:19]
	s_mul_hi_u32 s31, s18, s27
	s_mul_i32 s30, s18, s27
	s_mul_hi_u32 s28, s18, s26
	s_mul_i32 s21, s19, s26
	s_add_nc_u64 s[30:31], s[28:29], s[30:31]
	s_mul_hi_u32 s2, s19, s26
	s_mul_hi_u32 s33, s19, s27
	s_add_co_u32 s21, s30, s21
	s_add_co_ci_u32 s28, s31, s2
	s_mul_i32 s26, s19, s27
	s_add_co_ci_u32 s27, s33, 0
	s_delay_alu instid0(SALU_CYCLE_1) | instskip(NEXT) | instid1(SALU_CYCLE_1)
	s_add_nc_u64 s[26:27], s[28:29], s[26:27]
	s_add_co_u32 s18, s18, s26
	s_cselect_b32 s2, -1, 0
	s_delay_alu instid0(SALU_CYCLE_1) | instskip(SKIP_1) | instid1(SALU_CYCLE_1)
	s_cmp_lg_u32 s2, 0
	s_add_co_ci_u32 s19, s19, s27
	s_mul_u64 s[24:25], s[24:25], s[18:19]
	s_delay_alu instid0(SALU_CYCLE_1)
	s_mul_hi_u32 s27, s18, s25
	s_mul_i32 s26, s18, s25
	s_mul_hi_u32 s28, s18, s24
	s_mul_i32 s21, s19, s24
	s_add_nc_u64 s[26:27], s[28:29], s[26:27]
	s_mul_hi_u32 s2, s19, s24
	s_mul_hi_u32 s30, s19, s25
	s_add_co_u32 s21, s26, s21
	s_add_co_ci_u32 s28, s27, s2
	s_mul_i32 s24, s19, s25
	s_add_co_ci_u32 s25, s30, 0
	s_delay_alu instid0(SALU_CYCLE_1) | instskip(NEXT) | instid1(SALU_CYCLE_1)
	s_add_nc_u64 s[24:25], s[28:29], s[24:25]
	s_add_co_u32 s2, s18, s24
	s_cselect_b32 s18, -1, 0
	v_nop
	v_mul_hi_u32 v18, v10, s2
	s_cmp_lg_u32 s18, 0
	s_add_co_ci_u32 s28, s19, s25
	s_mov_b64 s[18:19], 0xffffffff
	v_mul_u64_e32 v[8:9], s[28:29], v[8:9]
	s_and_b64 s[18:19], s[2:3], s[18:19]
	s_delay_alu instid0(SALU_CYCLE_1) | instskip(SKIP_1) | instid1(VALU_DEP_3)
	v_mul_u64_e32 v[16:17], s[18:19], v[14:15]
	v_mul_u64_e32 v[14:15], s[28:29], v[14:15]
	v_add_nc_u64_e32 v[8:9], v[18:19], v[8:9]
	s_delay_alu instid0(VALU_DEP_1) | instskip(NEXT) | instid1(VALU_DEP_2)
	v_add_co_u32 v3, vcc_lo, v8, v16
	v_add_co_ci_u32_e32 v12, vcc_lo, v9, v17, vcc_lo
	s_delay_alu instid0(VALU_DEP_4) | instskip(NEXT) | instid1(VALU_DEP_1)
	v_add_co_ci_u32_e32 v15, vcc_lo, 0, v15, vcc_lo
	v_add_nc_u64_e32 v[8:9], v[12:13], v[14:15]
	s_delay_alu instid0(VALU_DEP_1) | instskip(NEXT) | instid1(VALU_DEP_1)
	v_mul_u64_e32 v[8:9], s[8:9], v[8:9]
	v_sub_nc_u32_e32 v3, v11, v9
	s_delay_alu instid0(VALU_DEP_2) | instskip(NEXT) | instid1(VALU_DEP_1)
	v_sub_co_u32 v5, vcc_lo, v10, v8
	v_sub_co_ci_u32_e64 v7, null, v11, v9, vcc_lo
	s_delay_alu instid0(VALU_DEP_3) | instskip(NEXT) | instid1(VALU_DEP_3)
	v_subrev_co_ci_u32_e64 v3, null, s9, v3, vcc_lo
	v_sub_co_u32 v8, vcc_lo, v5, s8
	v_cmp_le_u32_e64 s2, s8, v5
	s_delay_alu instid0(VALU_DEP_3) | instskip(SKIP_1) | instid1(VALU_DEP_3)
	v_subrev_co_ci_u32_e64 v9, null, 0, v3, vcc_lo
	v_subrev_co_ci_u32_e64 v3, null, s9, v3, vcc_lo
	v_cndmask_b32_e64 v10, 0, -1, s2
	v_cmp_le_u32_e64 s2, s8, v8
	v_cmp_le_u32_e32 vcc_lo, s9, v7
	s_delay_alu instid0(VALU_DEP_2) | instskip(SKIP_3) | instid1(VALU_DEP_3)
	v_cndmask_b32_e64 v11, 0, -1, s2
	v_cmp_le_u32_e64 s2, s9, v9
	v_cndmask_b32_e64 v13, 0, -1, vcc_lo
	v_cmp_eq_u32_e32 vcc_lo, s9, v9
	v_cndmask_b32_e64 v12, 0, -1, s2
	s_delay_alu instid0(VALU_DEP_1) | instskip(SKIP_1) | instid1(VALU_DEP_1)
	v_cndmask_b32_e32 v9, v12, v11, vcc_lo
	v_sub_co_u32 v11, vcc_lo, v8, s8
	v_subrev_co_ci_u32_e64 v3, null, 0, v3, vcc_lo
	v_cmp_eq_u32_e32 vcc_lo, s9, v7
	v_cndmask_b32_e32 v3, v13, v10, vcc_lo
	v_cmp_ne_u32_e32 vcc_lo, 0, v9
	v_cndmask_b32_e32 v7, v8, v11, vcc_lo
	s_delay_alu instid0(VALU_DEP_3) | instskip(NEXT) | instid1(VALU_DEP_2)
	v_cmp_ne_u32_e32 vcc_lo, 0, v3
                                        ; implicit-def: $vgpr10_vgpr11
	v_cndmask_b32_e32 v8, v5, v7, vcc_lo
.LBB17_28:
	s_and_not1_saveexec_b32 s2, s3
	s_cbranch_execz .LBB17_30
; %bb.29:
	v_cvt_f32_u32_e32 v3, s8
	s_sub_co_i32 s3, 0, s8
	s_delay_alu instid0(VALU_DEP_1) | instskip(SKIP_1) | instid1(TRANS32_DEP_1)
	v_rcp_iflag_f32_e32 v3, v3
	v_nop
	v_mul_f32_e32 v3, 0x4f7ffffe, v3
	s_delay_alu instid0(VALU_DEP_1) | instskip(NEXT) | instid1(VALU_DEP_1)
	v_cvt_u32_f32_e32 v3, v3
	v_mul_lo_u32 v5, s3, v3
	s_delay_alu instid0(VALU_DEP_1) | instskip(NEXT) | instid1(VALU_DEP_1)
	v_mul_hi_u32 v5, v3, v5
	v_add_nc_u32_e32 v3, v3, v5
	s_delay_alu instid0(VALU_DEP_1) | instskip(NEXT) | instid1(VALU_DEP_1)
	v_mul_hi_u32 v3, v10, v3
	v_mul_lo_u32 v3, v3, s8
	s_delay_alu instid0(VALU_DEP_1) | instskip(NEXT) | instid1(VALU_DEP_1)
	v_sub_nc_u32_e32 v3, v10, v3
	v_subrev_nc_u32_e32 v5, s8, v3
	v_cmp_le_u32_e32 vcc_lo, s8, v3
	s_delay_alu instid0(VALU_DEP_2) | instskip(NEXT) | instid1(VALU_DEP_1)
	v_cndmask_b32_e32 v3, v3, v5, vcc_lo
	v_subrev_nc_u32_e32 v5, s8, v3
	v_cmp_le_u32_e32 vcc_lo, s8, v3
	s_delay_alu instid0(VALU_DEP_2)
	v_cndmask_b32_e32 v8, v3, v5, vcc_lo
.LBB17_30:
	s_or_b32 exec_lo, exec_lo, s2
	v_mul_lo_u32 v3, v4, s20
	s_load_b96 s[0:2], s[0:1], 0x50
	v_add_nc_u32_e32 v4, 1, v6
	v_cvt_f32_i32_e32 v6, v6
	s_mul_u64 s[18:19], s[14:15], s[12:13]
	s_delay_alu instid0(VALU_DEP_3) | instskip(SKIP_3) | instid1(VALU_DEP_4)
	v_dual_ashrrev_i32 v9, 31, v8 :: v_dual_sub_nc_u32 v3, v0, v3
	v_add_nc_u32_e32 v5, 1, v2
	v_cvt_f32_i32_e32 v4, v4
	v_cvt_f32_i32_e32 v2, v2
	v_add_nc_u32_e32 v7, 1, v3
	s_delay_alu instid0(VALU_DEP_4) | instskip(SKIP_1) | instid1(VALU_DEP_3)
	v_cvt_f32_i32_e32 v5, v5
	v_cvt_f32_i32_e32 v3, v3
	;; [unrolled: 1-line block ×3, first 2 shown]
	s_wait_kmcnt 0x0
	v_fma_f32 v4, s1, v4, -0.5
	v_fma_f32 v5, s0, v5, -0.5
	;; [unrolled: 1-line block ×6, first 2 shown]
	v_ceil_f32_e32 v4, v4
	v_ceil_f32_e32 v5, v5
	;; [unrolled: 1-line block ×6, first 2 shown]
	v_cvt_i32_f32_e32 v4, v4
	v_cvt_i32_f32_e32 v5, v5
	;; [unrolled: 1-line block ×6, first 2 shown]
	v_min_i32_e32 v17, s10, v5
	v_min_i32_e32 v18, s12, v4
	;; [unrolled: 1-line block ×6, first 2 shown]
	v_cmp_gt_i32_e64 s0, v17, v2
	v_cmp_gt_i32_e64 s1, v18, v6
	;; [unrolled: 1-line block ×3, first 2 shown]
	s_mul_u64 s[10:11], s[18:19], s[10:11]
	s_mul_u64 s[12:13], s[16:17], s[8:9]
	s_mov_b64 s[16:17], 0
	s_branch .LBB17_33
.LBB17_31:                              ;   in Loop: Header=BB17_33 Depth=1
	s_or_b32 exec_lo, exec_lo, s20
	v_cvt_f16_f32_e32 v2, v22
.LBB17_32:                              ;   in Loop: Header=BB17_33 Depth=1
	s_or_b32 exec_lo, exec_lo, s3
	s_add_nc_u64 s[16:17], s[16:17], 1
	v_lshl_add_u64 v[4:5], v[0:1], 1, s[22:23]
	v_cmp_le_u64_e64 s3, s[6:7], s[16:17]
	v_add_nc_u64_e32 v[0:1], s[12:13], v[0:1]
	global_store_b16 v[4:5], v2, off
	s_and_b32 vcc_lo, exec_lo, s3
	s_cbranch_vccnz .LBB17_44
.LBB17_33:                              ; =>This Loop Header: Depth=1
                                        ;     Child Loop BB17_37 Depth 2
                                        ;       Child Loop BB17_40 Depth 3
                                        ;         Child Loop BB17_42 Depth 4
	s_wait_xcnt 0x0
	v_mov_b32_e32 v2, 0
	s_and_saveexec_b32 s3, s0
	s_cbranch_execz .LBB17_32
; %bb.34:                               ;   in Loop: Header=BB17_33 Depth=1
	v_mad_nc_u64_u32 v[2:3], s16, s8, v[8:9]
	s_mul_i32 s20, s17, s8
	s_mul_i32 s21, s16, s9
	v_dual_mov_b32 v22, 0 :: v_dual_mov_b32 v4, v20
	s_delay_alu instid0(VALU_DEP_2) | instskip(SKIP_1) | instid1(VALU_DEP_1)
	v_add3_u32 v3, s21, s20, v3
	s_mov_b32 s20, 0
	v_mul_u64_e32 v[2:3], s[10:11], v[2:3]
	s_delay_alu instid0(VALU_DEP_1)
	v_lshl_add_u64 v[2:3], v[2:3], 1, s[4:5]
	s_branch .LBB17_37
.LBB17_35:                              ;   in Loop: Header=BB17_37 Depth=2
	s_or_b32 exec_lo, exec_lo, s24
.LBB17_36:                              ;   in Loop: Header=BB17_37 Depth=2
	s_delay_alu instid0(SALU_CYCLE_1) | instskip(SKIP_1) | instid1(VALU_DEP_1)
	s_or_b32 exec_lo, exec_lo, s21
	v_add_nc_u32_e32 v4, 1, v4
	v_cmp_ge_i32_e32 vcc_lo, v4, v17
	s_or_b32 s20, vcc_lo, s20
	s_delay_alu instid0(SALU_CYCLE_1)
	s_and_not1_b32 exec_lo, exec_lo, s20
	s_cbranch_execz .LBB17_31
.LBB17_37:                              ;   Parent Loop BB17_33 Depth=1
                                        ; =>  This Loop Header: Depth=2
                                        ;       Child Loop BB17_40 Depth 3
                                        ;         Child Loop BB17_42 Depth 4
	s_and_saveexec_b32 s21, s1
	s_cbranch_execz .LBB17_36
; %bb.38:                               ;   in Loop: Header=BB17_37 Depth=2
	v_dual_mov_b32 v10, v16 :: v_dual_ashrrev_i32 v5, 31, v4
	s_mov_b32 s24, 0
	s_delay_alu instid0(VALU_DEP_1) | instskip(NEXT) | instid1(VALU_DEP_1)
	v_mul_u64_e32 v[6:7], s[18:19], v[4:5]
	v_lshl_add_u64 v[6:7], v[6:7], 1, v[2:3]
	s_branch .LBB17_40
.LBB17_39:                              ;   in Loop: Header=BB17_40 Depth=3
	s_or_b32 exec_lo, exec_lo, s25
	v_add_nc_u32_e32 v10, 1, v10
	s_delay_alu instid0(VALU_DEP_1) | instskip(SKIP_1) | instid1(SALU_CYCLE_1)
	v_cmp_ge_i32_e32 vcc_lo, v10, v18
	s_or_b32 s24, vcc_lo, s24
	s_and_not1_b32 exec_lo, exec_lo, s24
	s_cbranch_execz .LBB17_35
.LBB17_40:                              ;   Parent Loop BB17_33 Depth=1
                                        ;     Parent Loop BB17_37 Depth=2
                                        ; =>    This Loop Header: Depth=3
                                        ;         Child Loop BB17_42 Depth 4
	s_and_saveexec_b32 s25, s2
	s_cbranch_execz .LBB17_39
; %bb.41:                               ;   in Loop: Header=BB17_40 Depth=3
	v_dual_mov_b32 v14, v21 :: v_dual_ashrrev_i32 v11, 31, v10
	s_mov_b32 s26, 0
	s_delay_alu instid0(VALU_DEP_1) | instskip(NEXT) | instid1(VALU_DEP_1)
	v_mul_u64_e32 v[12:13], s[14:15], v[10:11]
	v_lshl_add_u64 v[12:13], v[12:13], 1, v[6:7]
.LBB17_42:                              ;   Parent Loop BB17_33 Depth=1
                                        ;     Parent Loop BB17_37 Depth=2
                                        ;       Parent Loop BB17_40 Depth=3
                                        ; =>      This Inner Loop Header: Depth=4
	s_delay_alu instid0(VALU_DEP_3) | instskip(NEXT) | instid1(VALU_DEP_1)
	v_ashrrev_i32_e32 v15, 31, v14
	v_lshl_add_u64 v[24:25], v[14:15], 1, v[12:13]
	v_add_nc_u32_e32 v14, 1, v14
	global_load_u16 v5, v[24:25], off
	v_cmp_ge_i32_e32 vcc_lo, v14, v19
	s_or_b32 s26, vcc_lo, s26
	s_wait_loadcnt 0x0
	v_cvt_f32_f16_e32 v5, v5
	s_delay_alu instid0(VALU_DEP_1)
	v_add_f32_e32 v22, v22, v5
	s_wait_xcnt 0x0
	s_and_not1_b32 exec_lo, exec_lo, s26
	s_cbranch_execnz .LBB17_42
; %bb.43:                               ;   in Loop: Header=BB17_40 Depth=3
	s_or_b32 exec_lo, exec_lo, s26
	s_branch .LBB17_39
.LBB17_44:
	s_endpgm
	.section	.rodata,"a",@progbits
	.p2align	6, 0x0
	.amdhsa_kernel _ZN2at6native12_GLOBAL__N_137upsample_nearest3d_backward_out_frameIN3c104HalfEfXadL_ZNS0_46nearest_neighbor_exact_bw_compute_source_indexEfiiEEEEvPKT_mmmmmmmmPS5_fff
		.amdhsa_group_segment_fixed_size 0
		.amdhsa_private_segment_fixed_size 0
		.amdhsa_kernarg_size 352
		.amdhsa_user_sgpr_count 2
		.amdhsa_user_sgpr_dispatch_ptr 0
		.amdhsa_user_sgpr_queue_ptr 0
		.amdhsa_user_sgpr_kernarg_segment_ptr 1
		.amdhsa_user_sgpr_dispatch_id 0
		.amdhsa_user_sgpr_kernarg_preload_length 0
		.amdhsa_user_sgpr_kernarg_preload_offset 0
		.amdhsa_user_sgpr_private_segment_size 0
		.amdhsa_wavefront_size32 1
		.amdhsa_uses_dynamic_stack 0
		.amdhsa_enable_private_segment 0
		.amdhsa_system_sgpr_workgroup_id_x 1
		.amdhsa_system_sgpr_workgroup_id_y 0
		.amdhsa_system_sgpr_workgroup_id_z 0
		.amdhsa_system_sgpr_workgroup_info 0
		.amdhsa_system_vgpr_workitem_id 0
		.amdhsa_next_free_vgpr 26
		.amdhsa_next_free_sgpr 39
		.amdhsa_named_barrier_count 0
		.amdhsa_reserve_vcc 1
		.amdhsa_float_round_mode_32 0
		.amdhsa_float_round_mode_16_64 0
		.amdhsa_float_denorm_mode_32 3
		.amdhsa_float_denorm_mode_16_64 3
		.amdhsa_fp16_overflow 0
		.amdhsa_memory_ordered 1
		.amdhsa_forward_progress 1
		.amdhsa_inst_pref_size 45
		.amdhsa_round_robin_scheduling 0
		.amdhsa_exception_fp_ieee_invalid_op 0
		.amdhsa_exception_fp_denorm_src 0
		.amdhsa_exception_fp_ieee_div_zero 0
		.amdhsa_exception_fp_ieee_overflow 0
		.amdhsa_exception_fp_ieee_underflow 0
		.amdhsa_exception_fp_ieee_inexact 0
		.amdhsa_exception_int_div_zero 0
	.end_amdhsa_kernel
	.section	.text._ZN2at6native12_GLOBAL__N_137upsample_nearest3d_backward_out_frameIN3c104HalfEfXadL_ZNS0_46nearest_neighbor_exact_bw_compute_source_indexEfiiEEEEvPKT_mmmmmmmmPS5_fff,"axG",@progbits,_ZN2at6native12_GLOBAL__N_137upsample_nearest3d_backward_out_frameIN3c104HalfEfXadL_ZNS0_46nearest_neighbor_exact_bw_compute_source_indexEfiiEEEEvPKT_mmmmmmmmPS5_fff,comdat
.Lfunc_end17:
	.size	_ZN2at6native12_GLOBAL__N_137upsample_nearest3d_backward_out_frameIN3c104HalfEfXadL_ZNS0_46nearest_neighbor_exact_bw_compute_source_indexEfiiEEEEvPKT_mmmmmmmmPS5_fff, .Lfunc_end17-_ZN2at6native12_GLOBAL__N_137upsample_nearest3d_backward_out_frameIN3c104HalfEfXadL_ZNS0_46nearest_neighbor_exact_bw_compute_source_indexEfiiEEEEvPKT_mmmmmmmmPS5_fff
                                        ; -- End function
	.set _ZN2at6native12_GLOBAL__N_137upsample_nearest3d_backward_out_frameIN3c104HalfEfXadL_ZNS0_46nearest_neighbor_exact_bw_compute_source_indexEfiiEEEEvPKT_mmmmmmmmPS5_fff.num_vgpr, 26
	.set _ZN2at6native12_GLOBAL__N_137upsample_nearest3d_backward_out_frameIN3c104HalfEfXadL_ZNS0_46nearest_neighbor_exact_bw_compute_source_indexEfiiEEEEvPKT_mmmmmmmmPS5_fff.num_agpr, 0
	.set _ZN2at6native12_GLOBAL__N_137upsample_nearest3d_backward_out_frameIN3c104HalfEfXadL_ZNS0_46nearest_neighbor_exact_bw_compute_source_indexEfiiEEEEvPKT_mmmmmmmmPS5_fff.numbered_sgpr, 39
	.set _ZN2at6native12_GLOBAL__N_137upsample_nearest3d_backward_out_frameIN3c104HalfEfXadL_ZNS0_46nearest_neighbor_exact_bw_compute_source_indexEfiiEEEEvPKT_mmmmmmmmPS5_fff.num_named_barrier, 0
	.set _ZN2at6native12_GLOBAL__N_137upsample_nearest3d_backward_out_frameIN3c104HalfEfXadL_ZNS0_46nearest_neighbor_exact_bw_compute_source_indexEfiiEEEEvPKT_mmmmmmmmPS5_fff.private_seg_size, 0
	.set _ZN2at6native12_GLOBAL__N_137upsample_nearest3d_backward_out_frameIN3c104HalfEfXadL_ZNS0_46nearest_neighbor_exact_bw_compute_source_indexEfiiEEEEvPKT_mmmmmmmmPS5_fff.uses_vcc, 1
	.set _ZN2at6native12_GLOBAL__N_137upsample_nearest3d_backward_out_frameIN3c104HalfEfXadL_ZNS0_46nearest_neighbor_exact_bw_compute_source_indexEfiiEEEEvPKT_mmmmmmmmPS5_fff.uses_flat_scratch, 0
	.set _ZN2at6native12_GLOBAL__N_137upsample_nearest3d_backward_out_frameIN3c104HalfEfXadL_ZNS0_46nearest_neighbor_exact_bw_compute_source_indexEfiiEEEEvPKT_mmmmmmmmPS5_fff.has_dyn_sized_stack, 0
	.set _ZN2at6native12_GLOBAL__N_137upsample_nearest3d_backward_out_frameIN3c104HalfEfXadL_ZNS0_46nearest_neighbor_exact_bw_compute_source_indexEfiiEEEEvPKT_mmmmmmmmPS5_fff.has_recursion, 0
	.set _ZN2at6native12_GLOBAL__N_137upsample_nearest3d_backward_out_frameIN3c104HalfEfXadL_ZNS0_46nearest_neighbor_exact_bw_compute_source_indexEfiiEEEEvPKT_mmmmmmmmPS5_fff.has_indirect_call, 0
	.section	.AMDGPU.csdata,"",@progbits
; Kernel info:
; codeLenInByte = 5700
; TotalNumSgprs: 41
; NumVgprs: 26
; ScratchSize: 0
; MemoryBound: 0
; FloatMode: 240
; IeeeMode: 1
; LDSByteSize: 0 bytes/workgroup (compile time only)
; SGPRBlocks: 0
; VGPRBlocks: 1
; NumSGPRsForWavesPerEU: 41
; NumVGPRsForWavesPerEU: 26
; NamedBarCnt: 0
; Occupancy: 16
; WaveLimiterHint : 0
; COMPUTE_PGM_RSRC2:SCRATCH_EN: 0
; COMPUTE_PGM_RSRC2:USER_SGPR: 2
; COMPUTE_PGM_RSRC2:TRAP_HANDLER: 0
; COMPUTE_PGM_RSRC2:TGID_X_EN: 1
; COMPUTE_PGM_RSRC2:TGID_Y_EN: 0
; COMPUTE_PGM_RSRC2:TGID_Z_EN: 0
; COMPUTE_PGM_RSRC2:TIDIG_COMP_CNT: 0
	.section	.text._ZN2at6native12_GLOBAL__N_137upsample_nearest3d_backward_out_frameIN3c108BFloat16EfXadL_ZNS0_46nearest_neighbor_exact_bw_compute_source_indexEfiiEEEEvPKT_mmmmmmmmPS5_fff,"axG",@progbits,_ZN2at6native12_GLOBAL__N_137upsample_nearest3d_backward_out_frameIN3c108BFloat16EfXadL_ZNS0_46nearest_neighbor_exact_bw_compute_source_indexEfiiEEEEvPKT_mmmmmmmmPS5_fff,comdat
	.globl	_ZN2at6native12_GLOBAL__N_137upsample_nearest3d_backward_out_frameIN3c108BFloat16EfXadL_ZNS0_46nearest_neighbor_exact_bw_compute_source_indexEfiiEEEEvPKT_mmmmmmmmPS5_fff ; -- Begin function _ZN2at6native12_GLOBAL__N_137upsample_nearest3d_backward_out_frameIN3c108BFloat16EfXadL_ZNS0_46nearest_neighbor_exact_bw_compute_source_indexEfiiEEEEvPKT_mmmmmmmmPS5_fff
	.p2align	8
	.type	_ZN2at6native12_GLOBAL__N_137upsample_nearest3d_backward_out_frameIN3c108BFloat16EfXadL_ZNS0_46nearest_neighbor_exact_bw_compute_source_indexEfiiEEEEvPKT_mmmmmmmmPS5_fff,@function
_ZN2at6native12_GLOBAL__N_137upsample_nearest3d_backward_out_frameIN3c108BFloat16EfXadL_ZNS0_46nearest_neighbor_exact_bw_compute_source_indexEfiiEEEEvPKT_mmmmmmmmPS5_fff: ; @_ZN2at6native12_GLOBAL__N_137upsample_nearest3d_backward_out_frameIN3c108BFloat16EfXadL_ZNS0_46nearest_neighbor_exact_bw_compute_source_indexEfiiEEEEvPKT_mmmmmmmmPS5_fff
; %bb.0:
	s_clause 0x2
	s_load_b32 s2, s[0:1], 0x6c
	s_load_b512 s[4:19], s[0:1], 0x0
	s_load_b128 s[20:23], s[0:1], 0x40
	s_bfe_u32 s3, ttmp6, 0x4000c
	v_mov_b32_e32 v2, 0
	s_add_co_i32 s3, s3, 1
	s_and_b32 s24, ttmp6, 15
	s_mul_i32 s3, ttmp9, s3
	s_getreg_b32 s25, hwreg(HW_REG_IB_STS2, 6, 4)
	v_mov_b32_e32 v1, v2
	s_add_co_i32 s24, s24, s3
	s_wait_kmcnt 0x0
	s_and_b32 s2, s2, 0xffff
	s_cmp_eq_u32 s25, 0
	s_cselect_b32 s3, ttmp9, s24
	s_mul_u64 s[24:25], s[18:19], s[16:17]
	v_mad_nc_u64_u32 v[0:1], s2, s3, v[0:1]
	s_mul_u64 s[2:3], s[24:25], s[8:9]
	s_delay_alu instid0(SALU_CYCLE_1)
	s_mul_u64 s[2:3], s[2:3], s[20:21]
	s_delay_alu instid0(VALU_DEP_1) | instid1(SALU_CYCLE_1)
	v_cmp_gt_u64_e32 vcc_lo, s[2:3], v[0:1]
	s_and_saveexec_b32 s2, vcc_lo
	s_cbranch_execz .LBB18_44
; %bb.1:
	v_or_b32_e32 v3, s19, v1
	s_delay_alu instid0(VALU_DEP_1) | instskip(SKIP_1) | instid1(SALU_CYCLE_1)
	v_cmp_ne_u64_e32 vcc_lo, 0, v[2:3]
                                        ; implicit-def: $vgpr2_vgpr3
	s_and_saveexec_b32 s2, vcc_lo
	s_xor_b32 s3, exec_lo, s2
	s_cbranch_execz .LBB18_3
; %bb.2:
	s_cvt_f32_u32 s2, s18
	s_cvt_f32_u32 s26, s19
	s_sub_nc_u64 s[28:29], 0, s[18:19]
	s_mov_b32 s35, 0
	v_dual_mov_b32 v3, 0 :: v_dual_mov_b32 v2, v0
	s_fmamk_f32 s2, s26, 0x4f800000, s2
	s_delay_alu instid0(SALU_CYCLE_3) | instskip(NEXT) | instid1(TRANS32_DEP_1)
	v_s_rcp_f32 s2, s2
	s_mul_f32 s2, s2, 0x5f7ffffc
	s_delay_alu instid0(SALU_CYCLE_3) | instskip(NEXT) | instid1(SALU_CYCLE_3)
	s_mul_f32 s26, s2, 0x2f800000
	s_trunc_f32 s26, s26
	s_delay_alu instid0(SALU_CYCLE_3) | instskip(SKIP_1) | instid1(SALU_CYCLE_2)
	s_fmamk_f32 s2, s26, 0xcf800000, s2
	s_cvt_u32_f32 s27, s26
	s_cvt_u32_f32 s26, s2
	s_delay_alu instid0(SALU_CYCLE_3) | instskip(NEXT) | instid1(SALU_CYCLE_1)
	s_mul_u64 s[30:31], s[28:29], s[26:27]
	s_mul_hi_u32 s37, s26, s31
	s_mul_i32 s36, s26, s31
	s_mul_hi_u32 s34, s26, s30
	s_mul_i32 s33, s27, s30
	s_add_nc_u64 s[36:37], s[34:35], s[36:37]
	s_mul_hi_u32 s2, s27, s30
	s_mul_hi_u32 s38, s27, s31
	s_mul_i32 s30, s27, s31
	s_add_co_u32 s31, s36, s33
	s_add_co_ci_u32 s34, s37, s2
	s_add_co_ci_u32 s31, s38, 0
	s_delay_alu instid0(SALU_CYCLE_1) | instskip(NEXT) | instid1(SALU_CYCLE_1)
	s_add_nc_u64 s[30:31], s[34:35], s[30:31]
	s_add_co_u32 s26, s26, s30
	s_cselect_b32 s2, -1, 0
	s_delay_alu instid0(SALU_CYCLE_1) | instskip(SKIP_1) | instid1(SALU_CYCLE_1)
	s_cmp_lg_u32 s2, 0
	s_add_co_ci_u32 s27, s27, s31
	s_mul_u64 s[28:29], s[28:29], s[26:27]
	s_delay_alu instid0(SALU_CYCLE_1)
	s_mul_hi_u32 s31, s26, s29
	s_mul_i32 s30, s26, s29
	s_mul_hi_u32 s34, s26, s28
	s_mul_i32 s33, s27, s28
	s_add_nc_u64 s[30:31], s[34:35], s[30:31]
	s_mul_hi_u32 s2, s27, s28
	s_mul_hi_u32 s36, s27, s29
	s_mul_i32 s28, s27, s29
	s_add_co_u32 s29, s30, s33
	s_add_co_ci_u32 s34, s31, s2
	s_add_co_ci_u32 s29, s36, 0
	s_delay_alu instid0(SALU_CYCLE_1) | instskip(NEXT) | instid1(SALU_CYCLE_1)
	s_add_nc_u64 s[28:29], s[34:35], s[28:29]
	s_add_co_u32 s2, s26, s28
	s_cselect_b32 s26, -1, 0
	s_delay_alu instid0(SALU_CYCLE_1)
	s_cmp_lg_u32 s26, 0
	s_add_co_ci_u32 s34, s27, s29
	s_mov_b64 s[26:27], 0xffffffff
	v_mul_u64_e32 v[4:5], s[34:35], v[2:3]
	v_mul_hi_u32 v2, v0, s2
	s_and_b64 s[26:27], s[2:3], s[26:27]
	s_delay_alu instid0(VALU_DEP_1) | instskip(SKIP_1) | instid1(VALU_DEP_1)
	v_add_nc_u64_e32 v[4:5], v[2:3], v[4:5]
	v_mov_b32_e32 v2, v1
	v_mul_u64_e32 v[6:7], s[26:27], v[2:3]
	v_mul_u64_e32 v[8:9], s[34:35], v[2:3]
	s_delay_alu instid0(VALU_DEP_2) | instskip(NEXT) | instid1(VALU_DEP_3)
	v_add_co_u32 v2, vcc_lo, v4, v6
	v_add_co_ci_u32_e32 v2, vcc_lo, v5, v7, vcc_lo
	s_delay_alu instid0(VALU_DEP_3) | instskip(NEXT) | instid1(VALU_DEP_1)
	v_add_co_ci_u32_e32 v9, vcc_lo, 0, v9, vcc_lo
	v_add_nc_u64_e32 v[2:3], v[2:3], v[8:9]
	s_delay_alu instid0(VALU_DEP_1) | instskip(NEXT) | instid1(VALU_DEP_1)
	v_mul_u64_e32 v[4:5], s[18:19], v[2:3]
	v_sub_nc_u32_e32 v6, v1, v5
	s_delay_alu instid0(VALU_DEP_2) | instskip(NEXT) | instid1(VALU_DEP_1)
	v_sub_co_u32 v4, vcc_lo, v0, v4
	v_sub_co_ci_u32_e64 v11, null, v1, v5, vcc_lo
	s_delay_alu instid0(VALU_DEP_3) | instskip(NEXT) | instid1(VALU_DEP_3)
	v_subrev_co_ci_u32_e64 v6, null, s19, v6, vcc_lo
	v_sub_co_u32 v8, s2, v4, s18
	v_cmp_le_u32_e32 vcc_lo, s18, v4
	s_delay_alu instid0(VALU_DEP_3) | instskip(NEXT) | instid1(VALU_DEP_3)
	v_subrev_co_ci_u32_e64 v9, null, 0, v6, s2
	v_cmp_le_u32_e64 s2, s18, v8
	v_add_nc_u64_e32 v[6:7], 2, v[2:3]
	v_cndmask_b32_e64 v12, 0, -1, vcc_lo
	s_delay_alu instid0(VALU_DEP_4) | instskip(SKIP_3) | instid1(VALU_DEP_1)
	v_cmp_eq_u32_e32 vcc_lo, s19, v9
	v_add_nc_u64_e32 v[4:5], 1, v[2:3]
	v_cndmask_b32_e64 v8, 0, -1, s2
	v_cmp_le_u32_e64 s2, s19, v9
	v_cndmask_b32_e64 v10, 0, -1, s2
	v_cmp_eq_u32_e64 s2, s19, v11
	s_delay_alu instid0(VALU_DEP_2) | instskip(SKIP_2) | instid1(VALU_DEP_3)
	v_cndmask_b32_e32 v8, v10, v8, vcc_lo
	v_cmp_le_u32_e32 vcc_lo, s19, v11
	v_cndmask_b32_e64 v9, 0, -1, vcc_lo
	v_cmp_ne_u32_e32 vcc_lo, 0, v8
	s_delay_alu instid0(VALU_DEP_2) | instskip(SKIP_1) | instid1(VALU_DEP_2)
	v_dual_cndmask_b32 v8, v9, v12, s2 :: v_dual_cndmask_b32 v4, v4, v6, vcc_lo
	v_cndmask_b32_e32 v5, v5, v7, vcc_lo
	v_cmp_ne_u32_e32 vcc_lo, 0, v8
	s_delay_alu instid0(VALU_DEP_2)
	v_dual_cndmask_b32 v3, v3, v5 :: v_dual_cndmask_b32 v2, v2, v4
.LBB18_3:
	s_and_not1_saveexec_b32 s2, s3
	s_cbranch_execz .LBB18_5
; %bb.4:
	v_cvt_f32_u32_e32 v2, s18
	s_sub_co_i32 s3, 0, s18
	s_delay_alu instid0(VALU_DEP_1) | instskip(SKIP_1) | instid1(TRANS32_DEP_1)
	v_rcp_iflag_f32_e32 v2, v2
	v_nop
	v_mul_f32_e32 v2, 0x4f7ffffe, v2
	s_delay_alu instid0(VALU_DEP_1) | instskip(NEXT) | instid1(VALU_DEP_1)
	v_cvt_u32_f32_e32 v2, v2
	v_mul_lo_u32 v3, s3, v2
	s_delay_alu instid0(VALU_DEP_1) | instskip(NEXT) | instid1(VALU_DEP_1)
	v_mul_hi_u32 v3, v2, v3
	v_add_nc_u32_e32 v2, v2, v3
	s_delay_alu instid0(VALU_DEP_1) | instskip(NEXT) | instid1(VALU_DEP_1)
	v_mul_hi_u32 v2, v0, v2
	v_mul_lo_u32 v3, v2, s18
	s_delay_alu instid0(VALU_DEP_1) | instskip(NEXT) | instid1(VALU_DEP_1)
	v_dual_add_nc_u32 v4, 1, v2 :: v_dual_sub_nc_u32 v3, v0, v3
	v_subrev_nc_u32_e32 v5, s18, v3
	v_cmp_le_u32_e32 vcc_lo, s18, v3
	s_delay_alu instid0(VALU_DEP_2) | instskip(NEXT) | instid1(VALU_DEP_1)
	v_dual_cndmask_b32 v3, v3, v5 :: v_dual_cndmask_b32 v2, v2, v4
	v_cmp_le_u32_e32 vcc_lo, s18, v3
	s_delay_alu instid0(VALU_DEP_2) | instskip(NEXT) | instid1(VALU_DEP_1)
	v_dual_mov_b32 v3, 0 :: v_dual_add_nc_u32 v4, 1, v2
	v_cndmask_b32_e32 v2, v2, v4, vcc_lo
.LBB18_5:
	s_or_b32 exec_lo, exec_lo, s2
	s_delay_alu instid0(VALU_DEP_1) | instskip(SKIP_1) | instid1(VALU_DEP_1)
	v_dual_mov_b32 v6, 0 :: v_dual_bitop2_b32 v7, s21, v3 bitop3:0x54
                                        ; implicit-def: $vgpr4_vgpr5
	s_mov_b32 s2, exec_lo
	v_cmpx_ne_u64_e32 0, v[6:7]
	s_xor_b32 s3, exec_lo, s2
	s_cbranch_execz .LBB18_7
; %bb.6:
	s_cvt_f32_u32 s2, s20
	s_cvt_f32_u32 s26, s21
	s_sub_nc_u64 s[28:29], 0, s[20:21]
	s_mov_b32 s35, 0
	v_dual_mov_b32 v4, v2 :: v_dual_mov_b32 v5, v6
	s_fmamk_f32 s2, s26, 0x4f800000, s2
	v_dual_mov_b32 v8, v3 :: v_dual_mov_b32 v9, v6
	v_dual_mov_b32 v13, v6 :: v_dual_mov_b32 v7, v6
	s_delay_alu instid0(SALU_CYCLE_1) | instskip(NEXT) | instid1(TRANS32_DEP_1)
	v_s_rcp_f32 s2, s2
	s_mul_f32 s2, s2, 0x5f7ffffc
	s_delay_alu instid0(SALU_CYCLE_3) | instskip(NEXT) | instid1(SALU_CYCLE_3)
	s_mul_f32 s26, s2, 0x2f800000
	s_trunc_f32 s26, s26
	s_delay_alu instid0(SALU_CYCLE_3) | instskip(SKIP_1) | instid1(SALU_CYCLE_2)
	s_fmamk_f32 s2, s26, 0xcf800000, s2
	s_cvt_u32_f32 s27, s26
	s_cvt_u32_f32 s26, s2
	s_delay_alu instid0(SALU_CYCLE_3) | instskip(NEXT) | instid1(SALU_CYCLE_1)
	s_mul_u64 s[30:31], s[28:29], s[26:27]
	s_mul_hi_u32 s37, s26, s31
	s_mul_i32 s36, s26, s31
	s_mul_hi_u32 s34, s26, s30
	s_mul_i32 s33, s27, s30
	s_add_nc_u64 s[36:37], s[34:35], s[36:37]
	s_mul_hi_u32 s2, s27, s30
	s_mul_hi_u32 s38, s27, s31
	s_mul_i32 s30, s27, s31
	s_add_co_u32 s31, s36, s33
	s_add_co_ci_u32 s34, s37, s2
	s_add_co_ci_u32 s31, s38, 0
	s_delay_alu instid0(SALU_CYCLE_1) | instskip(NEXT) | instid1(SALU_CYCLE_1)
	s_add_nc_u64 s[30:31], s[34:35], s[30:31]
	s_add_co_u32 s26, s26, s30
	s_cselect_b32 s2, -1, 0
	s_delay_alu instid0(SALU_CYCLE_1) | instskip(SKIP_1) | instid1(SALU_CYCLE_1)
	s_cmp_lg_u32 s2, 0
	s_add_co_ci_u32 s27, s27, s31
	s_mul_u64 s[28:29], s[28:29], s[26:27]
	s_delay_alu instid0(SALU_CYCLE_1)
	s_mul_hi_u32 s31, s26, s29
	s_mul_i32 s30, s26, s29
	s_mul_hi_u32 s34, s26, s28
	s_mul_i32 s33, s27, s28
	s_add_nc_u64 s[30:31], s[34:35], s[30:31]
	s_mul_hi_u32 s2, s27, s28
	s_mul_hi_u32 s36, s27, s29
	s_mul_i32 s28, s27, s29
	s_add_co_u32 s29, s30, s33
	s_add_co_ci_u32 s34, s31, s2
	s_add_co_ci_u32 s29, s36, 0
	s_delay_alu instid0(SALU_CYCLE_1) | instskip(NEXT) | instid1(SALU_CYCLE_1)
	s_add_nc_u64 s[28:29], s[34:35], s[28:29]
	s_add_co_u32 s2, s26, s28
	s_cselect_b32 s26, -1, 0
	v_nop
	v_mul_hi_u32 v12, v2, s2
	s_cmp_lg_u32 s26, 0
	s_add_co_ci_u32 s34, s27, s29
	s_mov_b64 s[26:27], 0xffffffff
	v_mul_u64_e32 v[4:5], s[34:35], v[4:5]
	s_and_b64 s[26:27], s[2:3], s[26:27]
	s_delay_alu instid0(SALU_CYCLE_1) | instskip(SKIP_1) | instid1(VALU_DEP_3)
	v_mul_u64_e32 v[10:11], s[26:27], v[8:9]
	v_mul_u64_e32 v[8:9], s[34:35], v[8:9]
	v_add_nc_u64_e32 v[4:5], v[12:13], v[4:5]
	s_delay_alu instid0(VALU_DEP_1) | instskip(NEXT) | instid1(VALU_DEP_2)
	v_add_co_u32 v4, vcc_lo, v4, v10
	v_add_co_ci_u32_e32 v6, vcc_lo, v5, v11, vcc_lo
	s_delay_alu instid0(VALU_DEP_4) | instskip(NEXT) | instid1(VALU_DEP_1)
	v_add_co_ci_u32_e32 v9, vcc_lo, 0, v9, vcc_lo
	v_add_nc_u64_e32 v[4:5], v[6:7], v[8:9]
	s_delay_alu instid0(VALU_DEP_1) | instskip(NEXT) | instid1(VALU_DEP_1)
	v_mul_u64_e32 v[6:7], s[20:21], v[4:5]
	v_sub_nc_u32_e32 v8, v3, v7
	s_delay_alu instid0(VALU_DEP_2) | instskip(NEXT) | instid1(VALU_DEP_1)
	v_sub_co_u32 v2, vcc_lo, v2, v6
	v_sub_co_ci_u32_e64 v7, null, v3, v7, vcc_lo
	s_delay_alu instid0(VALU_DEP_3) | instskip(NEXT) | instid1(VALU_DEP_3)
	v_subrev_co_ci_u32_e64 v6, null, s21, v8, vcc_lo
	v_sub_co_u32 v10, s2, v2, s20
	v_cmp_le_u32_e32 vcc_lo, s20, v2
	s_delay_alu instid0(VALU_DEP_3) | instskip(NEXT) | instid1(VALU_DEP_3)
	v_subrev_co_ci_u32_e64 v6, null, 0, v6, s2
	v_cmp_le_u32_e64 s2, s20, v10
	v_add_nc_u64_e32 v[8:9], 2, v[4:5]
	v_cndmask_b32_e64 v12, 0, -1, vcc_lo
	s_delay_alu instid0(VALU_DEP_4) | instskip(SKIP_3) | instid1(VALU_DEP_1)
	v_cmp_eq_u32_e32 vcc_lo, s21, v6
	v_add_nc_u64_e32 v[2:3], 1, v[4:5]
	v_cndmask_b32_e64 v10, 0, -1, s2
	v_cmp_le_u32_e64 s2, s21, v6
	v_cndmask_b32_e64 v11, 0, -1, s2
	v_cmp_eq_u32_e64 s2, s21, v7
	s_delay_alu instid0(VALU_DEP_2) | instskip(SKIP_2) | instid1(VALU_DEP_3)
	v_cndmask_b32_e32 v6, v11, v10, vcc_lo
	v_cmp_le_u32_e32 vcc_lo, s21, v7
	v_cndmask_b32_e64 v10, 0, -1, vcc_lo
	v_cmp_ne_u32_e32 vcc_lo, 0, v6
	s_delay_alu instid0(VALU_DEP_2) | instskip(SKIP_1) | instid1(VALU_DEP_2)
	v_cndmask_b32_e64 v6, v10, v12, s2
	v_dual_cndmask_b32 v2, v2, v8 :: v_dual_cndmask_b32 v3, v3, v9
	v_cmp_ne_u32_e32 vcc_lo, 0, v6
	s_delay_alu instid0(VALU_DEP_2)
	v_dual_cndmask_b32 v4, v4, v2 :: v_dual_cndmask_b32 v5, v5, v3
                                        ; implicit-def: $vgpr2_vgpr3
.LBB18_7:
	s_and_not1_saveexec_b32 s2, s3
	s_cbranch_execz .LBB18_9
; %bb.8:
	v_cvt_f32_u32_e32 v3, s20
	s_sub_co_i32 s3, 0, s20
	s_delay_alu instid0(VALU_DEP_1) | instskip(SKIP_1) | instid1(TRANS32_DEP_1)
	v_rcp_iflag_f32_e32 v3, v3
	v_nop
	v_mul_f32_e32 v3, 0x4f7ffffe, v3
	s_delay_alu instid0(VALU_DEP_1) | instskip(NEXT) | instid1(VALU_DEP_1)
	v_cvt_u32_f32_e32 v3, v3
	v_mul_lo_u32 v4, s3, v3
	s_delay_alu instid0(VALU_DEP_1) | instskip(NEXT) | instid1(VALU_DEP_1)
	v_mul_hi_u32 v4, v3, v4
	v_add_nc_u32_e32 v3, v3, v4
	s_delay_alu instid0(VALU_DEP_1) | instskip(NEXT) | instid1(VALU_DEP_1)
	v_mul_hi_u32 v3, v2, v3
	v_mul_lo_u32 v4, v3, s20
	s_delay_alu instid0(VALU_DEP_1) | instskip(NEXT) | instid1(VALU_DEP_1)
	v_dual_sub_nc_u32 v2, v2, v4 :: v_dual_add_nc_u32 v4, 1, v3
	v_subrev_nc_u32_e32 v5, s20, v2
	v_cmp_le_u32_e32 vcc_lo, s20, v2
	s_delay_alu instid0(VALU_DEP_2) | instskip(NEXT) | instid1(VALU_DEP_4)
	v_dual_cndmask_b32 v2, v2, v5 :: v_dual_mov_b32 v5, 0
	v_cndmask_b32_e32 v3, v3, v4, vcc_lo
	s_delay_alu instid0(VALU_DEP_2) | instskip(NEXT) | instid1(VALU_DEP_2)
	v_cmp_le_u32_e32 vcc_lo, s20, v2
	v_add_nc_u32_e32 v4, 1, v3
	s_delay_alu instid0(VALU_DEP_1)
	v_cndmask_b32_e32 v4, v3, v4, vcc_lo
.LBB18_9:
	s_or_b32 exec_lo, exec_lo, s2
	s_delay_alu instid0(VALU_DEP_1) | instskip(SKIP_1) | instid1(VALU_DEP_1)
	v_dual_mov_b32 v6, 0 :: v_dual_bitop2_b32 v7, s17, v5 bitop3:0x54
                                        ; implicit-def: $vgpr2_vgpr3
	s_mov_b32 s2, exec_lo
	v_cmpx_ne_u64_e32 0, v[6:7]
	s_xor_b32 s3, exec_lo, s2
	s_cbranch_execz .LBB18_11
; %bb.10:
	s_cvt_f32_u32 s2, s16
	s_cvt_f32_u32 s26, s17
	s_sub_nc_u64 s[28:29], 0, s[16:17]
	s_mov_b32 s35, 0
	v_dual_mov_b32 v2, v4 :: v_dual_mov_b32 v3, v6
	s_fmamk_f32 s2, s26, 0x4f800000, s2
	v_dual_mov_b32 v8, v5 :: v_dual_mov_b32 v9, v6
	v_dual_mov_b32 v13, v6 :: v_dual_mov_b32 v7, v6
	s_delay_alu instid0(SALU_CYCLE_1) | instskip(NEXT) | instid1(TRANS32_DEP_1)
	v_s_rcp_f32 s2, s2
	s_mul_f32 s2, s2, 0x5f7ffffc
	s_delay_alu instid0(SALU_CYCLE_3) | instskip(NEXT) | instid1(SALU_CYCLE_3)
	s_mul_f32 s26, s2, 0x2f800000
	s_trunc_f32 s26, s26
	s_delay_alu instid0(SALU_CYCLE_3) | instskip(SKIP_1) | instid1(SALU_CYCLE_2)
	s_fmamk_f32 s2, s26, 0xcf800000, s2
	s_cvt_u32_f32 s27, s26
	s_cvt_u32_f32 s26, s2
	s_delay_alu instid0(SALU_CYCLE_3) | instskip(NEXT) | instid1(SALU_CYCLE_1)
	s_mul_u64 s[30:31], s[28:29], s[26:27]
	s_mul_hi_u32 s37, s26, s31
	s_mul_i32 s36, s26, s31
	s_mul_hi_u32 s34, s26, s30
	s_mul_i32 s33, s27, s30
	s_add_nc_u64 s[36:37], s[34:35], s[36:37]
	s_mul_hi_u32 s2, s27, s30
	s_mul_hi_u32 s38, s27, s31
	s_mul_i32 s30, s27, s31
	s_add_co_u32 s31, s36, s33
	s_add_co_ci_u32 s34, s37, s2
	s_add_co_ci_u32 s31, s38, 0
	s_delay_alu instid0(SALU_CYCLE_1) | instskip(NEXT) | instid1(SALU_CYCLE_1)
	s_add_nc_u64 s[30:31], s[34:35], s[30:31]
	s_add_co_u32 s26, s26, s30
	s_cselect_b32 s2, -1, 0
	s_delay_alu instid0(SALU_CYCLE_1) | instskip(SKIP_1) | instid1(SALU_CYCLE_1)
	s_cmp_lg_u32 s2, 0
	s_add_co_ci_u32 s27, s27, s31
	s_mul_u64 s[28:29], s[28:29], s[26:27]
	s_delay_alu instid0(SALU_CYCLE_1)
	s_mul_hi_u32 s31, s26, s29
	s_mul_i32 s30, s26, s29
	s_mul_hi_u32 s34, s26, s28
	s_mul_i32 s33, s27, s28
	s_add_nc_u64 s[30:31], s[34:35], s[30:31]
	s_mul_hi_u32 s2, s27, s28
	s_mul_hi_u32 s36, s27, s29
	s_mul_i32 s28, s27, s29
	s_add_co_u32 s29, s30, s33
	s_add_co_ci_u32 s34, s31, s2
	s_add_co_ci_u32 s29, s36, 0
	s_delay_alu instid0(SALU_CYCLE_1) | instskip(NEXT) | instid1(SALU_CYCLE_1)
	s_add_nc_u64 s[28:29], s[34:35], s[28:29]
	s_add_co_u32 s2, s26, s28
	s_cselect_b32 s26, -1, 0
	v_nop
	v_mul_hi_u32 v12, v4, s2
	s_cmp_lg_u32 s26, 0
	s_add_co_ci_u32 s34, s27, s29
	s_mov_b64 s[26:27], 0xffffffff
	v_mul_u64_e32 v[2:3], s[34:35], v[2:3]
	s_and_b64 s[26:27], s[2:3], s[26:27]
	s_delay_alu instid0(SALU_CYCLE_1) | instskip(SKIP_1) | instid1(VALU_DEP_3)
	v_mul_u64_e32 v[10:11], s[26:27], v[8:9]
	v_mul_u64_e32 v[8:9], s[34:35], v[8:9]
	v_add_nc_u64_e32 v[2:3], v[12:13], v[2:3]
	s_delay_alu instid0(VALU_DEP_1) | instskip(NEXT) | instid1(VALU_DEP_2)
	v_add_co_u32 v2, vcc_lo, v2, v10
	v_add_co_ci_u32_e32 v6, vcc_lo, v3, v11, vcc_lo
	s_delay_alu instid0(VALU_DEP_4) | instskip(NEXT) | instid1(VALU_DEP_1)
	v_add_co_ci_u32_e32 v9, vcc_lo, 0, v9, vcc_lo
	v_add_nc_u64_e32 v[2:3], v[6:7], v[8:9]
	s_delay_alu instid0(VALU_DEP_1) | instskip(NEXT) | instid1(VALU_DEP_1)
	v_mul_u64_e32 v[2:3], s[16:17], v[2:3]
	v_sub_nc_u32_e32 v6, v5, v3
	s_delay_alu instid0(VALU_DEP_2) | instskip(NEXT) | instid1(VALU_DEP_1)
	v_sub_co_u32 v2, vcc_lo, v4, v2
	v_sub_co_ci_u32_e64 v3, null, v5, v3, vcc_lo
	s_delay_alu instid0(VALU_DEP_3) | instskip(NEXT) | instid1(VALU_DEP_3)
	v_subrev_co_ci_u32_e64 v4, null, s17, v6, vcc_lo
	v_sub_co_u32 v5, vcc_lo, v2, s16
	v_cmp_le_u32_e64 s2, s16, v2
	s_delay_alu instid0(VALU_DEP_3) | instskip(SKIP_1) | instid1(VALU_DEP_3)
	v_subrev_co_ci_u32_e64 v6, null, 0, v4, vcc_lo
	v_subrev_co_ci_u32_e64 v4, null, s17, v4, vcc_lo
	v_cndmask_b32_e64 v7, 0, -1, s2
	v_cmp_le_u32_e64 s2, s16, v5
	v_cmp_le_u32_e32 vcc_lo, s17, v3
	s_delay_alu instid0(VALU_DEP_2) | instskip(SKIP_3) | instid1(VALU_DEP_3)
	v_cndmask_b32_e64 v8, 0, -1, s2
	v_cmp_le_u32_e64 s2, s17, v6
	v_cndmask_b32_e64 v10, 0, -1, vcc_lo
	v_cmp_eq_u32_e32 vcc_lo, s17, v6
	v_cndmask_b32_e64 v9, 0, -1, s2
	s_delay_alu instid0(VALU_DEP_1) | instskip(SKIP_1) | instid1(VALU_DEP_1)
	v_cndmask_b32_e32 v6, v9, v8, vcc_lo
	v_sub_co_u32 v8, vcc_lo, v5, s16
	v_subrev_co_ci_u32_e64 v4, null, 0, v4, vcc_lo
	v_cmp_eq_u32_e32 vcc_lo, s17, v3
	v_cndmask_b32_e32 v3, v10, v7, vcc_lo
	v_cmp_ne_u32_e32 vcc_lo, 0, v6
	v_cndmask_b32_e32 v4, v5, v8, vcc_lo
	s_delay_alu instid0(VALU_DEP_3) | instskip(NEXT) | instid1(VALU_DEP_2)
	v_cmp_ne_u32_e32 vcc_lo, 0, v3
	v_cndmask_b32_e32 v2, v2, v4, vcc_lo
                                        ; implicit-def: $vgpr4_vgpr5
.LBB18_11:
	s_and_not1_saveexec_b32 s2, s3
	s_cbranch_execz .LBB18_13
; %bb.12:
	v_cvt_f32_u32_e32 v2, s16
	s_sub_co_i32 s3, 0, s16
	s_delay_alu instid0(VALU_DEP_1) | instskip(SKIP_1) | instid1(TRANS32_DEP_1)
	v_rcp_iflag_f32_e32 v2, v2
	v_nop
	v_mul_f32_e32 v2, 0x4f7ffffe, v2
	s_delay_alu instid0(VALU_DEP_1) | instskip(NEXT) | instid1(VALU_DEP_1)
	v_cvt_u32_f32_e32 v2, v2
	v_mul_lo_u32 v3, s3, v2
	s_delay_alu instid0(VALU_DEP_1) | instskip(NEXT) | instid1(VALU_DEP_1)
	v_mul_hi_u32 v3, v2, v3
	v_add_nc_u32_e32 v2, v2, v3
	s_delay_alu instid0(VALU_DEP_1) | instskip(NEXT) | instid1(VALU_DEP_1)
	v_mul_hi_u32 v2, v4, v2
	v_mul_lo_u32 v2, v2, s16
	s_delay_alu instid0(VALU_DEP_1) | instskip(NEXT) | instid1(VALU_DEP_1)
	v_sub_nc_u32_e32 v2, v4, v2
	v_subrev_nc_u32_e32 v3, s16, v2
	v_cmp_le_u32_e32 vcc_lo, s16, v2
	s_delay_alu instid0(VALU_DEP_2) | instskip(NEXT) | instid1(VALU_DEP_1)
	v_cndmask_b32_e32 v2, v2, v3, vcc_lo
	v_subrev_nc_u32_e32 v3, s16, v2
	v_cmp_le_u32_e32 vcc_lo, s16, v2
	s_delay_alu instid0(VALU_DEP_2)
	v_cndmask_b32_e32 v2, v2, v3, vcc_lo
.LBB18_13:
	s_or_b32 exec_lo, exec_lo, s2
	v_dual_mov_b32 v6, 0 :: v_dual_bitop2_b32 v7, s21, v1 bitop3:0x54
                                        ; implicit-def: $vgpr4_vgpr5
	s_mov_b32 s2, exec_lo
	s_delay_alu instid0(VALU_DEP_1)
	v_cmpx_ne_u64_e32 0, v[6:7]
	s_xor_b32 s3, exec_lo, s2
	s_cbranch_execz .LBB18_15
; %bb.14:
	s_cvt_f32_u32 s2, s20
	s_cvt_f32_u32 s16, s21
	s_sub_nc_u64 s[26:27], 0, s[20:21]
	s_mov_b32 s31, 0
	v_dual_mov_b32 v4, v0 :: v_dual_mov_b32 v5, v6
	s_fmamk_f32 s2, s16, 0x4f800000, s2
	v_dual_mov_b32 v8, v1 :: v_dual_mov_b32 v9, v6
	v_dual_mov_b32 v13, v6 :: v_dual_mov_b32 v7, v6
	s_delay_alu instid0(SALU_CYCLE_1) | instskip(NEXT) | instid1(TRANS32_DEP_1)
	v_s_rcp_f32 s2, s2
	s_mul_f32 s2, s2, 0x5f7ffffc
	s_delay_alu instid0(SALU_CYCLE_3) | instskip(NEXT) | instid1(SALU_CYCLE_3)
	s_mul_f32 s16, s2, 0x2f800000
	s_trunc_f32 s16, s16
	s_delay_alu instid0(SALU_CYCLE_3) | instskip(SKIP_1) | instid1(SALU_CYCLE_2)
	s_fmamk_f32 s2, s16, 0xcf800000, s2
	s_cvt_u32_f32 s17, s16
	s_cvt_u32_f32 s16, s2
	s_delay_alu instid0(SALU_CYCLE_3) | instskip(NEXT) | instid1(SALU_CYCLE_1)
	s_mul_u64 s[28:29], s[26:27], s[16:17]
	s_mul_hi_u32 s35, s16, s29
	s_mul_i32 s34, s16, s29
	s_mul_hi_u32 s30, s16, s28
	s_mul_i32 s33, s17, s28
	s_add_nc_u64 s[34:35], s[30:31], s[34:35]
	s_mul_hi_u32 s2, s17, s28
	s_mul_hi_u32 s36, s17, s29
	s_mul_i32 s28, s17, s29
	s_add_co_u32 s29, s34, s33
	s_add_co_ci_u32 s30, s35, s2
	s_add_co_ci_u32 s29, s36, 0
	s_delay_alu instid0(SALU_CYCLE_1) | instskip(NEXT) | instid1(SALU_CYCLE_1)
	s_add_nc_u64 s[28:29], s[30:31], s[28:29]
	s_add_co_u32 s16, s16, s28
	s_cselect_b32 s2, -1, 0
	s_delay_alu instid0(SALU_CYCLE_1) | instskip(SKIP_1) | instid1(SALU_CYCLE_1)
	s_cmp_lg_u32 s2, 0
	s_add_co_ci_u32 s17, s17, s29
	s_mul_u64 s[26:27], s[26:27], s[16:17]
	s_delay_alu instid0(SALU_CYCLE_1)
	s_mul_hi_u32 s29, s16, s27
	s_mul_i32 s28, s16, s27
	s_mul_hi_u32 s30, s16, s26
	s_mul_i32 s33, s17, s26
	s_add_nc_u64 s[28:29], s[30:31], s[28:29]
	s_mul_hi_u32 s2, s17, s26
	s_mul_hi_u32 s34, s17, s27
	s_mul_i32 s26, s17, s27
	s_add_co_u32 s27, s28, s33
	s_add_co_ci_u32 s30, s29, s2
	s_add_co_ci_u32 s27, s34, 0
	s_delay_alu instid0(SALU_CYCLE_1) | instskip(NEXT) | instid1(SALU_CYCLE_1)
	s_add_nc_u64 s[26:27], s[30:31], s[26:27]
	s_add_co_u32 s2, s16, s26
	s_cselect_b32 s16, -1, 0
	v_nop
	v_mul_hi_u32 v12, v0, s2
	s_cmp_lg_u32 s16, 0
	s_add_co_ci_u32 s30, s17, s27
	s_mov_b64 s[16:17], 0xffffffff
	v_mul_u64_e32 v[4:5], s[30:31], v[4:5]
	s_and_b64 s[16:17], s[2:3], s[16:17]
	s_delay_alu instid0(SALU_CYCLE_1) | instskip(SKIP_1) | instid1(VALU_DEP_3)
	v_mul_u64_e32 v[10:11], s[16:17], v[8:9]
	v_mul_u64_e32 v[8:9], s[30:31], v[8:9]
	v_add_nc_u64_e32 v[4:5], v[12:13], v[4:5]
	s_delay_alu instid0(VALU_DEP_1) | instskip(NEXT) | instid1(VALU_DEP_2)
	v_add_co_u32 v3, vcc_lo, v4, v10
	v_add_co_ci_u32_e32 v6, vcc_lo, v5, v11, vcc_lo
	s_delay_alu instid0(VALU_DEP_4) | instskip(NEXT) | instid1(VALU_DEP_1)
	v_add_co_ci_u32_e32 v9, vcc_lo, 0, v9, vcc_lo
	v_add_nc_u64_e32 v[4:5], v[6:7], v[8:9]
	s_delay_alu instid0(VALU_DEP_1) | instskip(SKIP_1) | instid1(VALU_DEP_2)
	v_mul_u64_e32 v[6:7], s[20:21], v[4:5]
	v_add_nc_u64_e32 v[8:9], 2, v[4:5]
	v_sub_nc_u32_e32 v3, v1, v7
	s_delay_alu instid0(VALU_DEP_3) | instskip(NEXT) | instid1(VALU_DEP_1)
	v_sub_co_u32 v6, vcc_lo, v0, v6
	v_sub_co_ci_u32_e64 v12, null, v1, v7, vcc_lo
	s_delay_alu instid0(VALU_DEP_3) | instskip(NEXT) | instid1(VALU_DEP_3)
	v_subrev_co_ci_u32_e64 v3, null, s21, v3, vcc_lo
	v_sub_co_u32 v10, s2, v6, s20
	v_cmp_le_u32_e32 vcc_lo, s20, v6
	s_delay_alu instid0(VALU_DEP_3) | instskip(NEXT) | instid1(VALU_DEP_3)
	v_subrev_co_ci_u32_e64 v3, null, 0, v3, s2
	v_cmp_le_u32_e64 s2, s20, v10
	v_add_nc_u64_e32 v[6:7], 1, v[4:5]
	v_cndmask_b32_e64 v13, 0, -1, vcc_lo
	s_delay_alu instid0(VALU_DEP_4) | instskip(NEXT) | instid1(VALU_DEP_4)
	v_cmp_eq_u32_e32 vcc_lo, s21, v3
	v_cndmask_b32_e64 v10, 0, -1, s2
	v_cmp_le_u32_e64 s2, s21, v3
	s_delay_alu instid0(VALU_DEP_1) | instskip(SKIP_1) | instid1(VALU_DEP_2)
	v_cndmask_b32_e64 v11, 0, -1, s2
	v_cmp_eq_u32_e64 s2, s21, v12
	v_cndmask_b32_e32 v3, v11, v10, vcc_lo
	v_cmp_le_u32_e32 vcc_lo, s21, v12
	v_cndmask_b32_e64 v10, 0, -1, vcc_lo
	s_delay_alu instid0(VALU_DEP_3) | instskip(SKIP_1) | instid1(VALU_DEP_3)
	v_cmp_ne_u32_e32 vcc_lo, 0, v3
	v_cndmask_b32_e32 v7, v7, v9, vcc_lo
	v_cndmask_b32_e64 v3, v10, v13, s2
	v_cndmask_b32_e32 v6, v6, v8, vcc_lo
	s_delay_alu instid0(VALU_DEP_2) | instskip(NEXT) | instid1(VALU_DEP_2)
	v_cmp_ne_u32_e32 vcc_lo, 0, v3
	v_dual_cndmask_b32 v5, v5, v7 :: v_dual_cndmask_b32 v4, v4, v6
.LBB18_15:
	s_and_not1_saveexec_b32 s2, s3
	s_cbranch_execz .LBB18_17
; %bb.16:
	v_cvt_f32_u32_e32 v3, s20
	s_sub_co_i32 s3, 0, s20
	s_delay_alu instid0(VALU_DEP_1) | instskip(SKIP_1) | instid1(TRANS32_DEP_1)
	v_rcp_iflag_f32_e32 v3, v3
	v_nop
	v_mul_f32_e32 v3, 0x4f7ffffe, v3
	s_delay_alu instid0(VALU_DEP_1) | instskip(NEXT) | instid1(VALU_DEP_1)
	v_cvt_u32_f32_e32 v3, v3
	v_mul_lo_u32 v4, s3, v3
	s_delay_alu instid0(VALU_DEP_1) | instskip(NEXT) | instid1(VALU_DEP_1)
	v_mul_hi_u32 v4, v3, v4
	v_add_nc_u32_e32 v3, v3, v4
	s_delay_alu instid0(VALU_DEP_1) | instskip(NEXT) | instid1(VALU_DEP_1)
	v_mul_hi_u32 v3, v0, v3
	v_mul_lo_u32 v4, v3, s20
	s_delay_alu instid0(VALU_DEP_1) | instskip(NEXT) | instid1(VALU_DEP_1)
	v_dual_add_nc_u32 v5, 1, v3 :: v_dual_sub_nc_u32 v4, v0, v4
	v_subrev_nc_u32_e32 v6, s20, v4
	v_cmp_le_u32_e32 vcc_lo, s20, v4
	s_delay_alu instid0(VALU_DEP_2) | instskip(NEXT) | instid1(VALU_DEP_1)
	v_dual_cndmask_b32 v4, v4, v6 :: v_dual_cndmask_b32 v3, v3, v5
	v_cmp_le_u32_e32 vcc_lo, s20, v4
	s_delay_alu instid0(VALU_DEP_2) | instskip(NEXT) | instid1(VALU_DEP_1)
	v_add_nc_u32_e32 v5, 1, v3
	v_dual_cndmask_b32 v4, v3, v5 :: v_dual_mov_b32 v5, 0
.LBB18_17:
	s_or_b32 exec_lo, exec_lo, s2
	s_delay_alu instid0(VALU_DEP_1) | instskip(SKIP_1) | instid1(VALU_DEP_1)
	v_dual_mov_b32 v8, 0 :: v_dual_bitop2_b32 v9, s19, v5 bitop3:0x54
                                        ; implicit-def: $vgpr6_vgpr7
	s_mov_b32 s2, exec_lo
	v_cmpx_ne_u64_e32 0, v[8:9]
	s_xor_b32 s3, exec_lo, s2
	s_cbranch_execnz .LBB18_20
; %bb.18:
	s_and_not1_saveexec_b32 s2, s3
	s_cbranch_execnz .LBB18_21
.LBB18_19:
	s_or_b32 exec_lo, exec_lo, s2
	s_cmp_eq_u64 s[6:7], 0
	s_cbranch_scc0 .LBB18_22
	s_branch .LBB18_44
.LBB18_20:
	s_cvt_f32_u32 s2, s18
	s_cvt_f32_u32 s16, s19
	s_sub_nc_u64 s[26:27], 0, s[18:19]
	s_mov_b32 s31, 0
	v_dual_mov_b32 v6, v4 :: v_dual_mov_b32 v7, v8
	s_fmamk_f32 s2, s16, 0x4f800000, s2
	v_dual_mov_b32 v10, v5 :: v_dual_mov_b32 v11, v8
	v_dual_mov_b32 v15, v8 :: v_dual_mov_b32 v9, v8
	s_delay_alu instid0(SALU_CYCLE_1) | instskip(NEXT) | instid1(TRANS32_DEP_1)
	v_s_rcp_f32 s2, s2
	s_mul_f32 s2, s2, 0x5f7ffffc
	s_delay_alu instid0(SALU_CYCLE_3) | instskip(NEXT) | instid1(SALU_CYCLE_3)
	s_mul_f32 s16, s2, 0x2f800000
	s_trunc_f32 s16, s16
	s_delay_alu instid0(SALU_CYCLE_3) | instskip(SKIP_1) | instid1(SALU_CYCLE_2)
	s_fmamk_f32 s2, s16, 0xcf800000, s2
	s_cvt_u32_f32 s17, s16
	s_cvt_u32_f32 s16, s2
	s_delay_alu instid0(SALU_CYCLE_3) | instskip(NEXT) | instid1(SALU_CYCLE_1)
	s_mul_u64 s[28:29], s[26:27], s[16:17]
	s_mul_hi_u32 s35, s16, s29
	s_mul_i32 s34, s16, s29
	s_mul_hi_u32 s30, s16, s28
	s_mul_i32 s33, s17, s28
	s_add_nc_u64 s[34:35], s[30:31], s[34:35]
	s_mul_hi_u32 s2, s17, s28
	s_mul_hi_u32 s36, s17, s29
	s_mul_i32 s28, s17, s29
	s_add_co_u32 s29, s34, s33
	s_add_co_ci_u32 s30, s35, s2
	s_add_co_ci_u32 s29, s36, 0
	s_delay_alu instid0(SALU_CYCLE_1) | instskip(NEXT) | instid1(SALU_CYCLE_1)
	s_add_nc_u64 s[28:29], s[30:31], s[28:29]
	s_add_co_u32 s16, s16, s28
	s_cselect_b32 s2, -1, 0
	s_delay_alu instid0(SALU_CYCLE_1) | instskip(SKIP_1) | instid1(SALU_CYCLE_1)
	s_cmp_lg_u32 s2, 0
	s_add_co_ci_u32 s17, s17, s29
	s_mul_u64 s[26:27], s[26:27], s[16:17]
	s_delay_alu instid0(SALU_CYCLE_1)
	s_mul_hi_u32 s29, s16, s27
	s_mul_i32 s28, s16, s27
	s_mul_hi_u32 s30, s16, s26
	s_mul_i32 s33, s17, s26
	s_add_nc_u64 s[28:29], s[30:31], s[28:29]
	s_mul_hi_u32 s2, s17, s26
	s_mul_hi_u32 s34, s17, s27
	s_mul_i32 s26, s17, s27
	s_add_co_u32 s27, s28, s33
	s_add_co_ci_u32 s30, s29, s2
	s_add_co_ci_u32 s27, s34, 0
	s_delay_alu instid0(SALU_CYCLE_1) | instskip(NEXT) | instid1(SALU_CYCLE_1)
	s_add_nc_u64 s[26:27], s[30:31], s[26:27]
	s_add_co_u32 s2, s16, s26
	s_cselect_b32 s16, -1, 0
	v_nop
	v_mul_hi_u32 v14, v4, s2
	s_cmp_lg_u32 s16, 0
	s_add_co_ci_u32 s30, s17, s27
	s_mov_b64 s[16:17], 0xffffffff
	v_mul_u64_e32 v[6:7], s[30:31], v[6:7]
	s_and_b64 s[16:17], s[2:3], s[16:17]
	s_delay_alu instid0(SALU_CYCLE_1) | instskip(SKIP_1) | instid1(VALU_DEP_3)
	v_mul_u64_e32 v[12:13], s[16:17], v[10:11]
	v_mul_u64_e32 v[10:11], s[30:31], v[10:11]
	v_add_nc_u64_e32 v[6:7], v[14:15], v[6:7]
	s_delay_alu instid0(VALU_DEP_1) | instskip(NEXT) | instid1(VALU_DEP_2)
	v_add_co_u32 v3, vcc_lo, v6, v12
	v_add_co_ci_u32_e32 v8, vcc_lo, v7, v13, vcc_lo
	s_delay_alu instid0(VALU_DEP_4) | instskip(NEXT) | instid1(VALU_DEP_1)
	v_add_co_ci_u32_e32 v11, vcc_lo, 0, v11, vcc_lo
	v_add_nc_u64_e32 v[6:7], v[8:9], v[10:11]
	s_delay_alu instid0(VALU_DEP_1) | instskip(NEXT) | instid1(VALU_DEP_1)
	v_mul_u64_e32 v[6:7], s[18:19], v[6:7]
	v_sub_nc_u32_e32 v3, v5, v7
	s_delay_alu instid0(VALU_DEP_2) | instskip(NEXT) | instid1(VALU_DEP_1)
	v_sub_co_u32 v6, vcc_lo, v4, v6
	v_sub_co_ci_u32_e64 v5, null, v5, v7, vcc_lo
	s_delay_alu instid0(VALU_DEP_3) | instskip(NEXT) | instid1(VALU_DEP_3)
	v_subrev_co_ci_u32_e64 v3, null, s19, v3, vcc_lo
	v_sub_co_u32 v7, vcc_lo, v6, s18
	v_cmp_le_u32_e64 s2, s18, v6
	s_delay_alu instid0(VALU_DEP_3) | instskip(SKIP_1) | instid1(VALU_DEP_3)
	v_subrev_co_ci_u32_e64 v8, null, 0, v3, vcc_lo
	v_subrev_co_ci_u32_e64 v3, null, s19, v3, vcc_lo
	v_cndmask_b32_e64 v9, 0, -1, s2
	v_cmp_le_u32_e64 s2, s18, v7
	v_cmp_le_u32_e32 vcc_lo, s19, v5
	s_delay_alu instid0(VALU_DEP_2) | instskip(SKIP_3) | instid1(VALU_DEP_3)
	v_cndmask_b32_e64 v10, 0, -1, s2
	v_cmp_le_u32_e64 s2, s19, v8
	v_cndmask_b32_e64 v12, 0, -1, vcc_lo
	v_cmp_eq_u32_e32 vcc_lo, s19, v8
	v_cndmask_b32_e64 v11, 0, -1, s2
	s_delay_alu instid0(VALU_DEP_1) | instskip(SKIP_1) | instid1(VALU_DEP_1)
	v_cndmask_b32_e32 v8, v11, v10, vcc_lo
	v_sub_co_u32 v10, vcc_lo, v7, s18
	v_subrev_co_ci_u32_e64 v3, null, 0, v3, vcc_lo
	v_cmp_eq_u32_e32 vcc_lo, s19, v5
	v_cndmask_b32_e32 v3, v12, v9, vcc_lo
	v_cmp_ne_u32_e32 vcc_lo, 0, v8
	v_cndmask_b32_e32 v5, v7, v10, vcc_lo
	s_delay_alu instid0(VALU_DEP_3) | instskip(NEXT) | instid1(VALU_DEP_2)
	v_cmp_ne_u32_e32 vcc_lo, 0, v3
	v_cndmask_b32_e32 v6, v6, v5, vcc_lo
	s_and_not1_saveexec_b32 s2, s3
	s_cbranch_execz .LBB18_19
.LBB18_21:
	v_cvt_f32_u32_e32 v3, s18
	s_sub_co_i32 s3, 0, s18
	s_delay_alu instid0(VALU_DEP_1) | instskip(SKIP_1) | instid1(TRANS32_DEP_1)
	v_rcp_iflag_f32_e32 v3, v3
	v_nop
	v_mul_f32_e32 v3, 0x4f7ffffe, v3
	s_delay_alu instid0(VALU_DEP_1) | instskip(NEXT) | instid1(VALU_DEP_1)
	v_cvt_u32_f32_e32 v3, v3
	v_mul_lo_u32 v5, s3, v3
	s_delay_alu instid0(VALU_DEP_1) | instskip(NEXT) | instid1(VALU_DEP_1)
	v_mul_hi_u32 v5, v3, v5
	v_add_nc_u32_e32 v3, v3, v5
	s_delay_alu instid0(VALU_DEP_1) | instskip(NEXT) | instid1(VALU_DEP_1)
	v_mul_hi_u32 v3, v4, v3
	v_mul_lo_u32 v3, v3, s18
	s_delay_alu instid0(VALU_DEP_1) | instskip(NEXT) | instid1(VALU_DEP_1)
	v_sub_nc_u32_e32 v3, v4, v3
	v_subrev_nc_u32_e32 v5, s18, v3
	v_cmp_le_u32_e32 vcc_lo, s18, v3
	s_delay_alu instid0(VALU_DEP_2) | instskip(NEXT) | instid1(VALU_DEP_1)
	v_cndmask_b32_e32 v3, v3, v5, vcc_lo
	v_subrev_nc_u32_e32 v5, s18, v3
	v_cmp_le_u32_e32 vcc_lo, s18, v3
	s_delay_alu instid0(VALU_DEP_2)
	v_cndmask_b32_e32 v6, v3, v5, vcc_lo
	s_or_b32 exec_lo, exec_lo, s2
	s_cmp_eq_u64 s[6:7], 0
	s_cbranch_scc1 .LBB18_44
.LBB18_22:
	s_mul_u64 s[16:17], s[24:25], s[20:21]
                                        ; implicit-def: $vgpr10_vgpr11
	s_mov_b32 s2, exec_lo
	v_dual_mov_b32 v8, 0 :: v_dual_bitop2_b32 v9, s17, v1 bitop3:0x54
	s_delay_alu instid0(VALU_DEP_1)
	v_cmpx_ne_u64_e32 0, v[8:9]
	s_xor_b32 s3, exec_lo, s2
	s_cbranch_execz .LBB18_24
; %bb.23:
	s_ashr_i32 s18, s17, 31
	s_mov_b32 s35, 0
	s_mov_b32 s19, s18
	v_dual_mov_b32 v15, v8 :: v_dual_ashrrev_i32 v10, 31, v1
	s_add_nc_u64 s[24:25], s[16:17], s[18:19]
	v_dual_mov_b32 v23, v8 :: v_dual_mov_b32 v9, v8
	s_xor_b64 s[24:25], s[24:25], s[18:19]
	s_delay_alu instid0(VALU_DEP_2) | instskip(SKIP_3) | instid1(VALU_DEP_1)
	v_mov_b32_e32 v11, v10
	s_cvt_f32_u32 s2, s24
	s_cvt_f32_u32 s19, s25
	s_sub_nc_u64 s[28:29], 0, s[24:25]
	v_add_nc_u64_e32 v[12:13], v[0:1], v[10:11]
	s_delay_alu instid0(SALU_CYCLE_1) | instskip(SKIP_1) | instid1(SALU_CYCLE_2)
	s_fmamk_f32 s2, s19, 0x4f800000, s2
	v_mov_b32_e32 v17, v8
	v_s_rcp_f32 s2, s2
	s_delay_alu instid0(VALU_DEP_2) | instskip(NEXT) | instid1(VALU_DEP_3)
	v_xor_b32_e32 v14, v12, v10
	v_xor_b32_e32 v16, v13, v10
	;; [unrolled: 1-line block ×3, first 2 shown]
	s_delay_alu instid0(TRANS32_DEP_1) | instskip(NEXT) | instid1(SALU_CYCLE_3)
	s_mul_f32 s2, s2, 0x5f7ffffc
	s_mul_f32 s19, s2, 0x2f800000
	s_delay_alu instid0(SALU_CYCLE_3) | instskip(NEXT) | instid1(SALU_CYCLE_3)
	s_trunc_f32 s19, s19
	s_fmamk_f32 s2, s19, 0xcf800000, s2
	s_cvt_u32_f32 s27, s19
	s_delay_alu instid0(SALU_CYCLE_2) | instskip(NEXT) | instid1(SALU_CYCLE_3)
	s_cvt_u32_f32 s26, s2
	s_mul_u64 s[30:31], s[28:29], s[26:27]
	s_delay_alu instid0(SALU_CYCLE_1)
	s_mul_hi_u32 s37, s26, s31
	s_mul_i32 s36, s26, s31
	s_mul_hi_u32 s34, s26, s30
	s_mul_i32 s19, s27, s30
	s_add_nc_u64 s[36:37], s[34:35], s[36:37]
	s_mul_hi_u32 s2, s27, s30
	s_mul_hi_u32 s21, s27, s31
	s_add_co_u32 s19, s36, s19
	s_add_co_ci_u32 s34, s37, s2
	s_mul_i32 s30, s27, s31
	s_add_co_ci_u32 s31, s21, 0
	s_delay_alu instid0(SALU_CYCLE_1) | instskip(NEXT) | instid1(SALU_CYCLE_1)
	s_add_nc_u64 s[30:31], s[34:35], s[30:31]
	s_add_co_u32 s26, s26, s30
	s_cselect_b32 s2, -1, 0
	s_delay_alu instid0(SALU_CYCLE_1) | instskip(SKIP_1) | instid1(SALU_CYCLE_1)
	s_cmp_lg_u32 s2, 0
	s_add_co_ci_u32 s27, s27, s31
	s_mul_u64 s[28:29], s[28:29], s[26:27]
	s_delay_alu instid0(SALU_CYCLE_1)
	s_mul_hi_u32 s31, s26, s29
	s_mul_i32 s30, s26, s29
	s_mul_hi_u32 s34, s26, s28
	s_mul_i32 s19, s27, s28
	s_add_nc_u64 s[30:31], s[34:35], s[30:31]
	s_mul_hi_u32 s2, s27, s28
	s_mul_hi_u32 s21, s27, s29
	s_add_co_u32 s19, s30, s19
	s_add_co_ci_u32 s34, s31, s2
	s_mul_i32 s28, s27, s29
	s_add_co_ci_u32 s29, s21, 0
	s_delay_alu instid0(SALU_CYCLE_1) | instskip(NEXT) | instid1(SALU_CYCLE_1)
	s_add_nc_u64 s[28:29], s[34:35], s[28:29]
	s_add_co_u32 s2, s26, s28
	s_cselect_b32 s19, -1, 0
	v_mul_hi_u32 v22, v14, s2
	s_cmp_lg_u32 s19, 0
	s_add_co_ci_u32 s34, s27, s29
	s_mov_b64 s[26:27], 0xffffffff
	v_mul_u64_e32 v[18:19], s[34:35], v[14:15]
	s_and_b64 s[26:27], s[2:3], s[26:27]
	v_mul_u64_e32 v[20:21], s[34:35], v[16:17]
	v_mul_u64_e32 v[12:13], s[26:27], v[16:17]
	s_delay_alu instid0(VALU_DEP_3) | instskip(NEXT) | instid1(VALU_DEP_1)
	v_add_nc_u64_e32 v[18:19], v[22:23], v[18:19]
	v_add_co_u32 v3, vcc_lo, v18, v12
	s_delay_alu instid0(VALU_DEP_2) | instskip(SKIP_1) | instid1(VALU_DEP_1)
	v_add_co_ci_u32_e32 v8, vcc_lo, v19, v13, vcc_lo
	v_add_co_ci_u32_e32 v21, vcc_lo, 0, v21, vcc_lo
	v_add_nc_u64_e32 v[8:9], v[8:9], v[20:21]
	s_delay_alu instid0(VALU_DEP_1) | instskip(NEXT) | instid1(VALU_DEP_1)
	v_mul_u64_e32 v[12:13], s[24:25], v[8:9]
	v_sub_co_u32 v5, vcc_lo, v14, v12
	v_add_nc_u64_e32 v[14:15], 1, v[8:9]
	s_delay_alu instid0(VALU_DEP_3) | instskip(SKIP_1) | instid1(VALU_DEP_4)
	v_sub_nc_u32_e32 v3, v16, v13
	v_sub_co_ci_u32_e64 v11, null, v16, v13, vcc_lo
	v_sub_co_u32 v7, s2, v5, s24
	s_delay_alu instid0(VALU_DEP_3) | instskip(NEXT) | instid1(VALU_DEP_2)
	v_subrev_co_ci_u32_e64 v3, null, s25, v3, vcc_lo
	v_cmp_le_u32_e32 vcc_lo, s24, v7
	s_delay_alu instid0(VALU_DEP_2) | instskip(SKIP_1) | instid1(VALU_DEP_2)
	v_subrev_co_ci_u32_e64 v3, null, 0, v3, s2
	v_cndmask_b32_e64 v7, 0, -1, vcc_lo
	v_cmp_le_u32_e32 vcc_lo, s25, v3
	v_cndmask_b32_e64 v12, 0, -1, vcc_lo
	v_cmp_le_u32_e32 vcc_lo, s24, v5
	;; [unrolled: 2-line block ×3, first 2 shown]
	v_cndmask_b32_e64 v16, 0, -1, vcc_lo
	v_cmp_eq_u32_e32 vcc_lo, s25, v3
	v_cndmask_b32_e32 v3, v12, v7, vcc_lo
	v_cmp_eq_u32_e32 vcc_lo, s25, v11
	v_add_nc_u64_e32 v[12:13], 2, v[8:9]
	v_dual_mov_b32 v11, v10 :: v_dual_cndmask_b32 v5, v16, v5, vcc_lo
	s_delay_alu instid0(VALU_DEP_4) | instskip(NEXT) | instid1(VALU_DEP_2)
	v_cmp_ne_u32_e32 vcc_lo, 0, v3
	v_cmp_ne_u32_e64 s2, 0, v5
	s_delay_alu instid0(VALU_DEP_4) | instskip(NEXT) | instid1(VALU_DEP_1)
	v_dual_cndmask_b32 v3, v15, v13, vcc_lo :: v_dual_cndmask_b32 v5, v14, v12, vcc_lo
	v_dual_cndmask_b32 v3, v9, v3, s2 :: v_dual_cndmask_b32 v5, v8, v5, s2
	s_delay_alu instid0(VALU_DEP_1) | instskip(NEXT) | instid1(VALU_DEP_2)
	v_xor_b32_e32 v9, v3, v10
	v_xor_b32_e32 v8, v5, v10
	s_delay_alu instid0(VALU_DEP_1)
	v_sub_nc_u64_e32 v[10:11], v[8:9], v[10:11]
.LBB18_24:
	s_and_not1_saveexec_b32 s2, s3
	s_cbranch_execz .LBB18_26
; %bb.25:
	v_cvt_f32_u32_e32 v3, s16
	s_sub_co_i32 s3, 0, s16
	v_mov_b32_e32 v11, 0
	s_delay_alu instid0(VALU_DEP_2) | instskip(SKIP_1) | instid1(TRANS32_DEP_1)
	v_rcp_iflag_f32_e32 v3, v3
	v_nop
	v_mul_f32_e32 v3, 0x4f7ffffe, v3
	s_delay_alu instid0(VALU_DEP_1) | instskip(NEXT) | instid1(VALU_DEP_1)
	v_cvt_u32_f32_e32 v3, v3
	v_mul_lo_u32 v5, s3, v3
	s_delay_alu instid0(VALU_DEP_1) | instskip(NEXT) | instid1(VALU_DEP_1)
	v_mul_hi_u32 v5, v3, v5
	v_add_nc_u32_e32 v3, v3, v5
	s_delay_alu instid0(VALU_DEP_1) | instskip(NEXT) | instid1(VALU_DEP_1)
	v_mul_hi_u32 v3, v0, v3
	v_mul_lo_u32 v5, v3, s16
	s_delay_alu instid0(VALU_DEP_1) | instskip(NEXT) | instid1(VALU_DEP_1)
	v_sub_nc_u32_e32 v5, v0, v5
	v_subrev_nc_u32_e32 v8, s16, v5
	v_cmp_le_u32_e32 vcc_lo, s16, v5
	s_delay_alu instid0(VALU_DEP_2) | instskip(NEXT) | instid1(VALU_DEP_1)
	v_dual_add_nc_u32 v7, 1, v3 :: v_dual_cndmask_b32 v5, v5, v8, vcc_lo
	v_cndmask_b32_e32 v3, v3, v7, vcc_lo
	s_delay_alu instid0(VALU_DEP_2) | instskip(NEXT) | instid1(VALU_DEP_2)
	v_cmp_le_u32_e32 vcc_lo, s16, v5
	v_add_nc_u32_e32 v7, 1, v3
	s_delay_alu instid0(VALU_DEP_1)
	v_cndmask_b32_e32 v10, v3, v7, vcc_lo
.LBB18_26:
	s_or_b32 exec_lo, exec_lo, s2
	s_delay_alu instid0(VALU_DEP_1) | instskip(SKIP_1) | instid1(VALU_DEP_1)
	v_dual_mov_b32 v12, 0 :: v_dual_bitop2_b32 v13, s9, v11 bitop3:0x54
                                        ; implicit-def: $vgpr8_vgpr9
	s_mov_b32 s2, exec_lo
	v_cmpx_ne_u64_e32 0, v[12:13]
	s_xor_b32 s3, exec_lo, s2
	s_cbranch_execz .LBB18_28
; %bb.27:
	s_cvt_f32_u32 s2, s8
	s_cvt_f32_u32 s18, s9
	s_sub_nc_u64 s[24:25], 0, s[8:9]
	s_mov_b32 s29, 0
	v_dual_mov_b32 v8, v10 :: v_dual_mov_b32 v9, v12
	s_fmamk_f32 s2, s18, 0x4f800000, s2
	v_dual_mov_b32 v14, v11 :: v_dual_mov_b32 v15, v12
	v_dual_mov_b32 v19, v12 :: v_dual_mov_b32 v13, v12
	s_delay_alu instid0(SALU_CYCLE_1) | instskip(NEXT) | instid1(TRANS32_DEP_1)
	v_s_rcp_f32 s2, s2
	s_mul_f32 s2, s2, 0x5f7ffffc
	s_delay_alu instid0(SALU_CYCLE_3) | instskip(NEXT) | instid1(SALU_CYCLE_3)
	s_mul_f32 s18, s2, 0x2f800000
	s_trunc_f32 s18, s18
	s_delay_alu instid0(SALU_CYCLE_3) | instskip(SKIP_1) | instid1(SALU_CYCLE_2)
	s_fmamk_f32 s2, s18, 0xcf800000, s2
	s_cvt_u32_f32 s19, s18
	s_cvt_u32_f32 s18, s2
	s_delay_alu instid0(SALU_CYCLE_3) | instskip(NEXT) | instid1(SALU_CYCLE_1)
	s_mul_u64 s[26:27], s[24:25], s[18:19]
	s_mul_hi_u32 s31, s18, s27
	s_mul_i32 s30, s18, s27
	s_mul_hi_u32 s28, s18, s26
	s_mul_i32 s21, s19, s26
	s_add_nc_u64 s[30:31], s[28:29], s[30:31]
	s_mul_hi_u32 s2, s19, s26
	s_mul_hi_u32 s33, s19, s27
	s_add_co_u32 s21, s30, s21
	s_add_co_ci_u32 s28, s31, s2
	s_mul_i32 s26, s19, s27
	s_add_co_ci_u32 s27, s33, 0
	s_delay_alu instid0(SALU_CYCLE_1) | instskip(NEXT) | instid1(SALU_CYCLE_1)
	s_add_nc_u64 s[26:27], s[28:29], s[26:27]
	s_add_co_u32 s18, s18, s26
	s_cselect_b32 s2, -1, 0
	s_delay_alu instid0(SALU_CYCLE_1) | instskip(SKIP_1) | instid1(SALU_CYCLE_1)
	s_cmp_lg_u32 s2, 0
	s_add_co_ci_u32 s19, s19, s27
	s_mul_u64 s[24:25], s[24:25], s[18:19]
	s_delay_alu instid0(SALU_CYCLE_1)
	s_mul_hi_u32 s27, s18, s25
	s_mul_i32 s26, s18, s25
	s_mul_hi_u32 s28, s18, s24
	s_mul_i32 s21, s19, s24
	s_add_nc_u64 s[26:27], s[28:29], s[26:27]
	s_mul_hi_u32 s2, s19, s24
	s_mul_hi_u32 s30, s19, s25
	s_add_co_u32 s21, s26, s21
	s_add_co_ci_u32 s28, s27, s2
	s_mul_i32 s24, s19, s25
	s_add_co_ci_u32 s25, s30, 0
	s_delay_alu instid0(SALU_CYCLE_1) | instskip(NEXT) | instid1(SALU_CYCLE_1)
	s_add_nc_u64 s[24:25], s[28:29], s[24:25]
	s_add_co_u32 s2, s18, s24
	s_cselect_b32 s18, -1, 0
	v_nop
	v_mul_hi_u32 v18, v10, s2
	s_cmp_lg_u32 s18, 0
	s_add_co_ci_u32 s28, s19, s25
	s_mov_b64 s[18:19], 0xffffffff
	v_mul_u64_e32 v[8:9], s[28:29], v[8:9]
	s_and_b64 s[18:19], s[2:3], s[18:19]
	s_delay_alu instid0(SALU_CYCLE_1) | instskip(SKIP_1) | instid1(VALU_DEP_3)
	v_mul_u64_e32 v[16:17], s[18:19], v[14:15]
	v_mul_u64_e32 v[14:15], s[28:29], v[14:15]
	v_add_nc_u64_e32 v[8:9], v[18:19], v[8:9]
	s_delay_alu instid0(VALU_DEP_1) | instskip(NEXT) | instid1(VALU_DEP_2)
	v_add_co_u32 v3, vcc_lo, v8, v16
	v_add_co_ci_u32_e32 v12, vcc_lo, v9, v17, vcc_lo
	s_delay_alu instid0(VALU_DEP_4) | instskip(NEXT) | instid1(VALU_DEP_1)
	v_add_co_ci_u32_e32 v15, vcc_lo, 0, v15, vcc_lo
	v_add_nc_u64_e32 v[8:9], v[12:13], v[14:15]
	s_delay_alu instid0(VALU_DEP_1) | instskip(NEXT) | instid1(VALU_DEP_1)
	v_mul_u64_e32 v[8:9], s[8:9], v[8:9]
	v_sub_nc_u32_e32 v3, v11, v9
	s_delay_alu instid0(VALU_DEP_2) | instskip(NEXT) | instid1(VALU_DEP_1)
	v_sub_co_u32 v5, vcc_lo, v10, v8
	v_sub_co_ci_u32_e64 v7, null, v11, v9, vcc_lo
	s_delay_alu instid0(VALU_DEP_3) | instskip(NEXT) | instid1(VALU_DEP_3)
	v_subrev_co_ci_u32_e64 v3, null, s9, v3, vcc_lo
	v_sub_co_u32 v8, vcc_lo, v5, s8
	v_cmp_le_u32_e64 s2, s8, v5
	s_delay_alu instid0(VALU_DEP_3) | instskip(SKIP_1) | instid1(VALU_DEP_3)
	v_subrev_co_ci_u32_e64 v9, null, 0, v3, vcc_lo
	v_subrev_co_ci_u32_e64 v3, null, s9, v3, vcc_lo
	v_cndmask_b32_e64 v10, 0, -1, s2
	v_cmp_le_u32_e64 s2, s8, v8
	v_cmp_le_u32_e32 vcc_lo, s9, v7
	s_delay_alu instid0(VALU_DEP_2) | instskip(SKIP_3) | instid1(VALU_DEP_3)
	v_cndmask_b32_e64 v11, 0, -1, s2
	v_cmp_le_u32_e64 s2, s9, v9
	v_cndmask_b32_e64 v13, 0, -1, vcc_lo
	v_cmp_eq_u32_e32 vcc_lo, s9, v9
	v_cndmask_b32_e64 v12, 0, -1, s2
	s_delay_alu instid0(VALU_DEP_1) | instskip(SKIP_1) | instid1(VALU_DEP_1)
	v_cndmask_b32_e32 v9, v12, v11, vcc_lo
	v_sub_co_u32 v11, vcc_lo, v8, s8
	v_subrev_co_ci_u32_e64 v3, null, 0, v3, vcc_lo
	v_cmp_eq_u32_e32 vcc_lo, s9, v7
	v_cndmask_b32_e32 v3, v13, v10, vcc_lo
	v_cmp_ne_u32_e32 vcc_lo, 0, v9
	v_cndmask_b32_e32 v7, v8, v11, vcc_lo
	s_delay_alu instid0(VALU_DEP_3) | instskip(NEXT) | instid1(VALU_DEP_2)
	v_cmp_ne_u32_e32 vcc_lo, 0, v3
                                        ; implicit-def: $vgpr10_vgpr11
	v_cndmask_b32_e32 v8, v5, v7, vcc_lo
.LBB18_28:
	s_and_not1_saveexec_b32 s2, s3
	s_cbranch_execz .LBB18_30
; %bb.29:
	v_cvt_f32_u32_e32 v3, s8
	s_sub_co_i32 s3, 0, s8
	s_delay_alu instid0(VALU_DEP_1) | instskip(SKIP_1) | instid1(TRANS32_DEP_1)
	v_rcp_iflag_f32_e32 v3, v3
	v_nop
	v_mul_f32_e32 v3, 0x4f7ffffe, v3
	s_delay_alu instid0(VALU_DEP_1) | instskip(NEXT) | instid1(VALU_DEP_1)
	v_cvt_u32_f32_e32 v3, v3
	v_mul_lo_u32 v5, s3, v3
	s_delay_alu instid0(VALU_DEP_1) | instskip(NEXT) | instid1(VALU_DEP_1)
	v_mul_hi_u32 v5, v3, v5
	v_add_nc_u32_e32 v3, v3, v5
	s_delay_alu instid0(VALU_DEP_1) | instskip(NEXT) | instid1(VALU_DEP_1)
	v_mul_hi_u32 v3, v10, v3
	v_mul_lo_u32 v3, v3, s8
	s_delay_alu instid0(VALU_DEP_1) | instskip(NEXT) | instid1(VALU_DEP_1)
	v_sub_nc_u32_e32 v3, v10, v3
	v_subrev_nc_u32_e32 v5, s8, v3
	v_cmp_le_u32_e32 vcc_lo, s8, v3
	s_delay_alu instid0(VALU_DEP_2) | instskip(NEXT) | instid1(VALU_DEP_1)
	v_cndmask_b32_e32 v3, v3, v5, vcc_lo
	v_subrev_nc_u32_e32 v5, s8, v3
	v_cmp_le_u32_e32 vcc_lo, s8, v3
	s_delay_alu instid0(VALU_DEP_2)
	v_cndmask_b32_e32 v8, v3, v5, vcc_lo
.LBB18_30:
	s_or_b32 exec_lo, exec_lo, s2
	v_mul_lo_u32 v3, v4, s20
	s_load_b96 s[0:2], s[0:1], 0x50
	v_add_nc_u32_e32 v4, 1, v6
	v_cvt_f32_i32_e32 v6, v6
	s_mul_u64 s[18:19], s[14:15], s[12:13]
	s_delay_alu instid0(VALU_DEP_3) | instskip(SKIP_3) | instid1(VALU_DEP_4)
	v_dual_ashrrev_i32 v9, 31, v8 :: v_dual_sub_nc_u32 v3, v0, v3
	v_add_nc_u32_e32 v5, 1, v2
	v_cvt_f32_i32_e32 v4, v4
	v_cvt_f32_i32_e32 v2, v2
	v_add_nc_u32_e32 v7, 1, v3
	s_delay_alu instid0(VALU_DEP_4) | instskip(SKIP_1) | instid1(VALU_DEP_3)
	v_cvt_f32_i32_e32 v5, v5
	v_cvt_f32_i32_e32 v3, v3
	;; [unrolled: 1-line block ×3, first 2 shown]
	s_wait_kmcnt 0x0
	v_fma_f32 v4, s1, v4, -0.5
	v_fma_f32 v5, s0, v5, -0.5
	;; [unrolled: 1-line block ×6, first 2 shown]
	v_ceil_f32_e32 v4, v4
	v_ceil_f32_e32 v5, v5
	v_ceil_f32_e32 v6, v6
	v_ceil_f32_e32 v7, v7
	v_ceil_f32_e32 v2, v2
	v_ceil_f32_e32 v3, v3
	v_cvt_i32_f32_e32 v4, v4
	v_cvt_i32_f32_e32 v5, v5
	;; [unrolled: 1-line block ×6, first 2 shown]
	v_min_i32_e32 v17, s10, v5
	v_min_i32_e32 v18, s12, v4
	;; [unrolled: 1-line block ×6, first 2 shown]
	v_cmp_gt_i32_e64 s0, v17, v2
	v_cmp_gt_i32_e64 s1, v18, v6
	;; [unrolled: 1-line block ×3, first 2 shown]
	s_mul_u64 s[10:11], s[18:19], s[10:11]
	s_mul_u64 s[12:13], s[16:17], s[8:9]
	s_mov_b64 s[16:17], 0
	s_branch .LBB18_33
.LBB18_31:                              ;   in Loop: Header=BB18_33 Depth=1
	s_or_b32 exec_lo, exec_lo, s20
.LBB18_32:                              ;   in Loop: Header=BB18_33 Depth=1
	s_delay_alu instid0(SALU_CYCLE_1) | instskip(SKIP_4) | instid1(VALU_DEP_3)
	s_or_b32 exec_lo, exec_lo, s3
	v_bfe_u32 v2, v22, 16, 1
	s_add_nc_u64 s[16:17], s[16:17], 1
	v_cmp_o_f32_e32 vcc_lo, v22, v22
	v_cmp_le_u64_e64 s3, s[6:7], s[16:17]
	v_add3_u32 v2, v22, v2, 0x7fff
	s_delay_alu instid0(VALU_DEP_1) | instskip(SKIP_2) | instid1(VALU_DEP_3)
	v_lshrrev_b32_e32 v4, 16, v2
	v_lshl_add_u64 v[2:3], v[0:1], 1, s[22:23]
	v_add_nc_u64_e32 v[0:1], s[12:13], v[0:1]
	v_cndmask_b32_e32 v4, 0x7fc0, v4, vcc_lo
	s_and_b32 vcc_lo, exec_lo, s3
	global_store_b16 v[2:3], v4, off
	s_cbranch_vccnz .LBB18_44
.LBB18_33:                              ; =>This Loop Header: Depth=1
                                        ;     Child Loop BB18_37 Depth 2
                                        ;       Child Loop BB18_40 Depth 3
                                        ;         Child Loop BB18_42 Depth 4
	v_mov_b32_e32 v22, 0
	s_wait_xcnt 0x0
	s_and_saveexec_b32 s3, s0
	s_cbranch_execz .LBB18_32
; %bb.34:                               ;   in Loop: Header=BB18_33 Depth=1
	v_mad_nc_u64_u32 v[2:3], s16, s8, v[8:9]
	s_mul_i32 s20, s17, s8
	s_mul_i32 s21, s16, s9
	v_dual_mov_b32 v22, 0 :: v_dual_mov_b32 v4, v20
	s_delay_alu instid0(VALU_DEP_2) | instskip(SKIP_1) | instid1(VALU_DEP_1)
	v_add3_u32 v3, s21, s20, v3
	s_mov_b32 s20, 0
	v_mul_u64_e32 v[2:3], s[10:11], v[2:3]
	s_delay_alu instid0(VALU_DEP_1)
	v_lshl_add_u64 v[2:3], v[2:3], 1, s[4:5]
	s_branch .LBB18_37
.LBB18_35:                              ;   in Loop: Header=BB18_37 Depth=2
	s_or_b32 exec_lo, exec_lo, s24
.LBB18_36:                              ;   in Loop: Header=BB18_37 Depth=2
	s_delay_alu instid0(SALU_CYCLE_1) | instskip(SKIP_1) | instid1(VALU_DEP_1)
	s_or_b32 exec_lo, exec_lo, s21
	v_add_nc_u32_e32 v4, 1, v4
	v_cmp_ge_i32_e32 vcc_lo, v4, v17
	s_or_b32 s20, vcc_lo, s20
	s_delay_alu instid0(SALU_CYCLE_1)
	s_and_not1_b32 exec_lo, exec_lo, s20
	s_cbranch_execz .LBB18_31
.LBB18_37:                              ;   Parent Loop BB18_33 Depth=1
                                        ; =>  This Loop Header: Depth=2
                                        ;       Child Loop BB18_40 Depth 3
                                        ;         Child Loop BB18_42 Depth 4
	s_and_saveexec_b32 s21, s1
	s_cbranch_execz .LBB18_36
; %bb.38:                               ;   in Loop: Header=BB18_37 Depth=2
	v_dual_mov_b32 v10, v16 :: v_dual_ashrrev_i32 v5, 31, v4
	s_mov_b32 s24, 0
	s_delay_alu instid0(VALU_DEP_1) | instskip(NEXT) | instid1(VALU_DEP_1)
	v_mul_u64_e32 v[6:7], s[18:19], v[4:5]
	v_lshl_add_u64 v[6:7], v[6:7], 1, v[2:3]
	s_branch .LBB18_40
.LBB18_39:                              ;   in Loop: Header=BB18_40 Depth=3
	s_or_b32 exec_lo, exec_lo, s25
	v_add_nc_u32_e32 v10, 1, v10
	s_delay_alu instid0(VALU_DEP_1) | instskip(SKIP_1) | instid1(SALU_CYCLE_1)
	v_cmp_ge_i32_e32 vcc_lo, v10, v18
	s_or_b32 s24, vcc_lo, s24
	s_and_not1_b32 exec_lo, exec_lo, s24
	s_cbranch_execz .LBB18_35
.LBB18_40:                              ;   Parent Loop BB18_33 Depth=1
                                        ;     Parent Loop BB18_37 Depth=2
                                        ; =>    This Loop Header: Depth=3
                                        ;         Child Loop BB18_42 Depth 4
	s_and_saveexec_b32 s25, s2
	s_cbranch_execz .LBB18_39
; %bb.41:                               ;   in Loop: Header=BB18_40 Depth=3
	v_dual_mov_b32 v14, v21 :: v_dual_ashrrev_i32 v11, 31, v10
	s_mov_b32 s26, 0
	s_delay_alu instid0(VALU_DEP_1) | instskip(NEXT) | instid1(VALU_DEP_1)
	v_mul_u64_e32 v[12:13], s[14:15], v[10:11]
	v_lshl_add_u64 v[12:13], v[12:13], 1, v[6:7]
.LBB18_42:                              ;   Parent Loop BB18_33 Depth=1
                                        ;     Parent Loop BB18_37 Depth=2
                                        ;       Parent Loop BB18_40 Depth=3
                                        ; =>      This Inner Loop Header: Depth=4
	s_delay_alu instid0(VALU_DEP_3) | instskip(NEXT) | instid1(VALU_DEP_1)
	v_ashrrev_i32_e32 v15, 31, v14
	v_lshl_add_u64 v[24:25], v[14:15], 1, v[12:13]
	v_add_nc_u32_e32 v14, 1, v14
	global_load_u16 v5, v[24:25], off
	v_cmp_ge_i32_e32 vcc_lo, v14, v19
	s_or_b32 s26, vcc_lo, s26
	s_wait_loadcnt 0x0
	v_lshlrev_b32_e32 v5, 16, v5
	s_delay_alu instid0(VALU_DEP_1)
	v_add_f32_e32 v22, v22, v5
	s_wait_xcnt 0x0
	s_and_not1_b32 exec_lo, exec_lo, s26
	s_cbranch_execnz .LBB18_42
; %bb.43:                               ;   in Loop: Header=BB18_40 Depth=3
	s_or_b32 exec_lo, exec_lo, s26
	s_branch .LBB18_39
.LBB18_44:
	s_endpgm
	.section	.rodata,"a",@progbits
	.p2align	6, 0x0
	.amdhsa_kernel _ZN2at6native12_GLOBAL__N_137upsample_nearest3d_backward_out_frameIN3c108BFloat16EfXadL_ZNS0_46nearest_neighbor_exact_bw_compute_source_indexEfiiEEEEvPKT_mmmmmmmmPS5_fff
		.amdhsa_group_segment_fixed_size 0
		.amdhsa_private_segment_fixed_size 0
		.amdhsa_kernarg_size 352
		.amdhsa_user_sgpr_count 2
		.amdhsa_user_sgpr_dispatch_ptr 0
		.amdhsa_user_sgpr_queue_ptr 0
		.amdhsa_user_sgpr_kernarg_segment_ptr 1
		.amdhsa_user_sgpr_dispatch_id 0
		.amdhsa_user_sgpr_kernarg_preload_length 0
		.amdhsa_user_sgpr_kernarg_preload_offset 0
		.amdhsa_user_sgpr_private_segment_size 0
		.amdhsa_wavefront_size32 1
		.amdhsa_uses_dynamic_stack 0
		.amdhsa_enable_private_segment 0
		.amdhsa_system_sgpr_workgroup_id_x 1
		.amdhsa_system_sgpr_workgroup_id_y 0
		.amdhsa_system_sgpr_workgroup_id_z 0
		.amdhsa_system_sgpr_workgroup_info 0
		.amdhsa_system_vgpr_workitem_id 0
		.amdhsa_next_free_vgpr 26
		.amdhsa_next_free_sgpr 39
		.amdhsa_named_barrier_count 0
		.amdhsa_reserve_vcc 1
		.amdhsa_float_round_mode_32 0
		.amdhsa_float_round_mode_16_64 0
		.amdhsa_float_denorm_mode_32 3
		.amdhsa_float_denorm_mode_16_64 3
		.amdhsa_fp16_overflow 0
		.amdhsa_memory_ordered 1
		.amdhsa_forward_progress 1
		.amdhsa_inst_pref_size 45
		.amdhsa_round_robin_scheduling 0
		.amdhsa_exception_fp_ieee_invalid_op 0
		.amdhsa_exception_fp_denorm_src 0
		.amdhsa_exception_fp_ieee_div_zero 0
		.amdhsa_exception_fp_ieee_overflow 0
		.amdhsa_exception_fp_ieee_underflow 0
		.amdhsa_exception_fp_ieee_inexact 0
		.amdhsa_exception_int_div_zero 0
	.end_amdhsa_kernel
	.section	.text._ZN2at6native12_GLOBAL__N_137upsample_nearest3d_backward_out_frameIN3c108BFloat16EfXadL_ZNS0_46nearest_neighbor_exact_bw_compute_source_indexEfiiEEEEvPKT_mmmmmmmmPS5_fff,"axG",@progbits,_ZN2at6native12_GLOBAL__N_137upsample_nearest3d_backward_out_frameIN3c108BFloat16EfXadL_ZNS0_46nearest_neighbor_exact_bw_compute_source_indexEfiiEEEEvPKT_mmmmmmmmPS5_fff,comdat
.Lfunc_end18:
	.size	_ZN2at6native12_GLOBAL__N_137upsample_nearest3d_backward_out_frameIN3c108BFloat16EfXadL_ZNS0_46nearest_neighbor_exact_bw_compute_source_indexEfiiEEEEvPKT_mmmmmmmmPS5_fff, .Lfunc_end18-_ZN2at6native12_GLOBAL__N_137upsample_nearest3d_backward_out_frameIN3c108BFloat16EfXadL_ZNS0_46nearest_neighbor_exact_bw_compute_source_indexEfiiEEEEvPKT_mmmmmmmmPS5_fff
                                        ; -- End function
	.set _ZN2at6native12_GLOBAL__N_137upsample_nearest3d_backward_out_frameIN3c108BFloat16EfXadL_ZNS0_46nearest_neighbor_exact_bw_compute_source_indexEfiiEEEEvPKT_mmmmmmmmPS5_fff.num_vgpr, 26
	.set _ZN2at6native12_GLOBAL__N_137upsample_nearest3d_backward_out_frameIN3c108BFloat16EfXadL_ZNS0_46nearest_neighbor_exact_bw_compute_source_indexEfiiEEEEvPKT_mmmmmmmmPS5_fff.num_agpr, 0
	.set _ZN2at6native12_GLOBAL__N_137upsample_nearest3d_backward_out_frameIN3c108BFloat16EfXadL_ZNS0_46nearest_neighbor_exact_bw_compute_source_indexEfiiEEEEvPKT_mmmmmmmmPS5_fff.numbered_sgpr, 39
	.set _ZN2at6native12_GLOBAL__N_137upsample_nearest3d_backward_out_frameIN3c108BFloat16EfXadL_ZNS0_46nearest_neighbor_exact_bw_compute_source_indexEfiiEEEEvPKT_mmmmmmmmPS5_fff.num_named_barrier, 0
	.set _ZN2at6native12_GLOBAL__N_137upsample_nearest3d_backward_out_frameIN3c108BFloat16EfXadL_ZNS0_46nearest_neighbor_exact_bw_compute_source_indexEfiiEEEEvPKT_mmmmmmmmPS5_fff.private_seg_size, 0
	.set _ZN2at6native12_GLOBAL__N_137upsample_nearest3d_backward_out_frameIN3c108BFloat16EfXadL_ZNS0_46nearest_neighbor_exact_bw_compute_source_indexEfiiEEEEvPKT_mmmmmmmmPS5_fff.uses_vcc, 1
	.set _ZN2at6native12_GLOBAL__N_137upsample_nearest3d_backward_out_frameIN3c108BFloat16EfXadL_ZNS0_46nearest_neighbor_exact_bw_compute_source_indexEfiiEEEEvPKT_mmmmmmmmPS5_fff.uses_flat_scratch, 0
	.set _ZN2at6native12_GLOBAL__N_137upsample_nearest3d_backward_out_frameIN3c108BFloat16EfXadL_ZNS0_46nearest_neighbor_exact_bw_compute_source_indexEfiiEEEEvPKT_mmmmmmmmPS5_fff.has_dyn_sized_stack, 0
	.set _ZN2at6native12_GLOBAL__N_137upsample_nearest3d_backward_out_frameIN3c108BFloat16EfXadL_ZNS0_46nearest_neighbor_exact_bw_compute_source_indexEfiiEEEEvPKT_mmmmmmmmPS5_fff.has_recursion, 0
	.set _ZN2at6native12_GLOBAL__N_137upsample_nearest3d_backward_out_frameIN3c108BFloat16EfXadL_ZNS0_46nearest_neighbor_exact_bw_compute_source_indexEfiiEEEEvPKT_mmmmmmmmPS5_fff.has_indirect_call, 0
	.section	.AMDGPU.csdata,"",@progbits
; Kernel info:
; codeLenInByte = 5740
; TotalNumSgprs: 41
; NumVgprs: 26
; ScratchSize: 0
; MemoryBound: 0
; FloatMode: 240
; IeeeMode: 1
; LDSByteSize: 0 bytes/workgroup (compile time only)
; SGPRBlocks: 0
; VGPRBlocks: 1
; NumSGPRsForWavesPerEU: 41
; NumVGPRsForWavesPerEU: 26
; NamedBarCnt: 0
; Occupancy: 16
; WaveLimiterHint : 0
; COMPUTE_PGM_RSRC2:SCRATCH_EN: 0
; COMPUTE_PGM_RSRC2:USER_SGPR: 2
; COMPUTE_PGM_RSRC2:TRAP_HANDLER: 0
; COMPUTE_PGM_RSRC2:TGID_X_EN: 1
; COMPUTE_PGM_RSRC2:TGID_Y_EN: 0
; COMPUTE_PGM_RSRC2:TGID_Z_EN: 0
; COMPUTE_PGM_RSRC2:TIDIG_COMP_CNT: 0
	.section	.text._ZN2at6native12_GLOBAL__N_137upsample_nearest3d_backward_out_frameIhlXadL_ZNS0_46nearest_neighbor_exact_bw_compute_source_indexEfiiEEEEvPKT_mmmmmmmmPS3_fff,"axG",@progbits,_ZN2at6native12_GLOBAL__N_137upsample_nearest3d_backward_out_frameIhlXadL_ZNS0_46nearest_neighbor_exact_bw_compute_source_indexEfiiEEEEvPKT_mmmmmmmmPS3_fff,comdat
	.globl	_ZN2at6native12_GLOBAL__N_137upsample_nearest3d_backward_out_frameIhlXadL_ZNS0_46nearest_neighbor_exact_bw_compute_source_indexEfiiEEEEvPKT_mmmmmmmmPS3_fff ; -- Begin function _ZN2at6native12_GLOBAL__N_137upsample_nearest3d_backward_out_frameIhlXadL_ZNS0_46nearest_neighbor_exact_bw_compute_source_indexEfiiEEEEvPKT_mmmmmmmmPS3_fff
	.p2align	8
	.type	_ZN2at6native12_GLOBAL__N_137upsample_nearest3d_backward_out_frameIhlXadL_ZNS0_46nearest_neighbor_exact_bw_compute_source_indexEfiiEEEEvPKT_mmmmmmmmPS3_fff,@function
_ZN2at6native12_GLOBAL__N_137upsample_nearest3d_backward_out_frameIhlXadL_ZNS0_46nearest_neighbor_exact_bw_compute_source_indexEfiiEEEEvPKT_mmmmmmmmPS3_fff: ; @_ZN2at6native12_GLOBAL__N_137upsample_nearest3d_backward_out_frameIhlXadL_ZNS0_46nearest_neighbor_exact_bw_compute_source_indexEfiiEEEEvPKT_mmmmmmmmPS3_fff
; %bb.0:
	s_clause 0x2
	s_load_b32 s2, s[0:1], 0x6c
	s_load_b512 s[4:19], s[0:1], 0x0
	s_load_b128 s[20:23], s[0:1], 0x40
	s_bfe_u32 s3, ttmp6, 0x4000c
	v_mov_b32_e32 v2, 0
	s_add_co_i32 s3, s3, 1
	s_and_b32 s24, ttmp6, 15
	s_mul_i32 s3, ttmp9, s3
	s_getreg_b32 s25, hwreg(HW_REG_IB_STS2, 6, 4)
	v_mov_b32_e32 v1, v2
	s_add_co_i32 s24, s24, s3
	s_wait_kmcnt 0x0
	s_and_b32 s2, s2, 0xffff
	s_cmp_eq_u32 s25, 0
	s_cselect_b32 s3, ttmp9, s24
	s_mul_u64 s[24:25], s[18:19], s[16:17]
	v_mad_nc_u64_u32 v[0:1], s2, s3, v[0:1]
	s_mul_u64 s[2:3], s[24:25], s[8:9]
	s_delay_alu instid0(SALU_CYCLE_1)
	s_mul_u64 s[2:3], s[2:3], s[20:21]
	s_delay_alu instid0(VALU_DEP_1) | instid1(SALU_CYCLE_1)
	v_cmp_gt_u64_e32 vcc_lo, s[2:3], v[0:1]
	s_and_saveexec_b32 s2, vcc_lo
	s_cbranch_execz .LBB19_44
; %bb.1:
	v_or_b32_e32 v3, s19, v1
	s_delay_alu instid0(VALU_DEP_1) | instskip(SKIP_1) | instid1(SALU_CYCLE_1)
	v_cmp_ne_u64_e32 vcc_lo, 0, v[2:3]
                                        ; implicit-def: $vgpr2_vgpr3
	s_and_saveexec_b32 s2, vcc_lo
	s_xor_b32 s3, exec_lo, s2
	s_cbranch_execz .LBB19_3
; %bb.2:
	s_cvt_f32_u32 s2, s18
	s_cvt_f32_u32 s26, s19
	s_sub_nc_u64 s[28:29], 0, s[18:19]
	s_mov_b32 s35, 0
	v_dual_mov_b32 v3, 0 :: v_dual_mov_b32 v2, v0
	s_fmamk_f32 s2, s26, 0x4f800000, s2
	s_delay_alu instid0(SALU_CYCLE_3) | instskip(NEXT) | instid1(TRANS32_DEP_1)
	v_s_rcp_f32 s2, s2
	s_mul_f32 s2, s2, 0x5f7ffffc
	s_delay_alu instid0(SALU_CYCLE_3) | instskip(NEXT) | instid1(SALU_CYCLE_3)
	s_mul_f32 s26, s2, 0x2f800000
	s_trunc_f32 s26, s26
	s_delay_alu instid0(SALU_CYCLE_3) | instskip(SKIP_1) | instid1(SALU_CYCLE_2)
	s_fmamk_f32 s2, s26, 0xcf800000, s2
	s_cvt_u32_f32 s27, s26
	s_cvt_u32_f32 s26, s2
	s_delay_alu instid0(SALU_CYCLE_3) | instskip(NEXT) | instid1(SALU_CYCLE_1)
	s_mul_u64 s[30:31], s[28:29], s[26:27]
	s_mul_hi_u32 s37, s26, s31
	s_mul_i32 s36, s26, s31
	s_mul_hi_u32 s34, s26, s30
	s_mul_i32 s33, s27, s30
	s_add_nc_u64 s[36:37], s[34:35], s[36:37]
	s_mul_hi_u32 s2, s27, s30
	s_mul_hi_u32 s38, s27, s31
	s_mul_i32 s30, s27, s31
	s_add_co_u32 s31, s36, s33
	s_add_co_ci_u32 s34, s37, s2
	s_add_co_ci_u32 s31, s38, 0
	s_delay_alu instid0(SALU_CYCLE_1) | instskip(NEXT) | instid1(SALU_CYCLE_1)
	s_add_nc_u64 s[30:31], s[34:35], s[30:31]
	s_add_co_u32 s26, s26, s30
	s_cselect_b32 s2, -1, 0
	s_delay_alu instid0(SALU_CYCLE_1) | instskip(SKIP_1) | instid1(SALU_CYCLE_1)
	s_cmp_lg_u32 s2, 0
	s_add_co_ci_u32 s27, s27, s31
	s_mul_u64 s[28:29], s[28:29], s[26:27]
	s_delay_alu instid0(SALU_CYCLE_1)
	s_mul_hi_u32 s31, s26, s29
	s_mul_i32 s30, s26, s29
	s_mul_hi_u32 s34, s26, s28
	s_mul_i32 s33, s27, s28
	s_add_nc_u64 s[30:31], s[34:35], s[30:31]
	s_mul_hi_u32 s2, s27, s28
	s_mul_hi_u32 s36, s27, s29
	s_mul_i32 s28, s27, s29
	s_add_co_u32 s29, s30, s33
	s_add_co_ci_u32 s34, s31, s2
	s_add_co_ci_u32 s29, s36, 0
	s_delay_alu instid0(SALU_CYCLE_1) | instskip(NEXT) | instid1(SALU_CYCLE_1)
	s_add_nc_u64 s[28:29], s[34:35], s[28:29]
	s_add_co_u32 s2, s26, s28
	s_cselect_b32 s26, -1, 0
	s_delay_alu instid0(SALU_CYCLE_1)
	s_cmp_lg_u32 s26, 0
	s_add_co_ci_u32 s34, s27, s29
	s_mov_b64 s[26:27], 0xffffffff
	v_mul_u64_e32 v[4:5], s[34:35], v[2:3]
	v_mul_hi_u32 v2, v0, s2
	s_and_b64 s[26:27], s[2:3], s[26:27]
	s_delay_alu instid0(VALU_DEP_1) | instskip(SKIP_1) | instid1(VALU_DEP_1)
	v_add_nc_u64_e32 v[4:5], v[2:3], v[4:5]
	v_mov_b32_e32 v2, v1
	v_mul_u64_e32 v[6:7], s[26:27], v[2:3]
	v_mul_u64_e32 v[8:9], s[34:35], v[2:3]
	s_delay_alu instid0(VALU_DEP_2) | instskip(NEXT) | instid1(VALU_DEP_3)
	v_add_co_u32 v2, vcc_lo, v4, v6
	v_add_co_ci_u32_e32 v2, vcc_lo, v5, v7, vcc_lo
	s_delay_alu instid0(VALU_DEP_3) | instskip(NEXT) | instid1(VALU_DEP_1)
	v_add_co_ci_u32_e32 v9, vcc_lo, 0, v9, vcc_lo
	v_add_nc_u64_e32 v[2:3], v[2:3], v[8:9]
	s_delay_alu instid0(VALU_DEP_1) | instskip(NEXT) | instid1(VALU_DEP_1)
	v_mul_u64_e32 v[4:5], s[18:19], v[2:3]
	v_sub_nc_u32_e32 v6, v1, v5
	s_delay_alu instid0(VALU_DEP_2) | instskip(NEXT) | instid1(VALU_DEP_1)
	v_sub_co_u32 v4, vcc_lo, v0, v4
	v_sub_co_ci_u32_e64 v11, null, v1, v5, vcc_lo
	s_delay_alu instid0(VALU_DEP_3) | instskip(NEXT) | instid1(VALU_DEP_3)
	v_subrev_co_ci_u32_e64 v6, null, s19, v6, vcc_lo
	v_sub_co_u32 v8, s2, v4, s18
	v_cmp_le_u32_e32 vcc_lo, s18, v4
	s_delay_alu instid0(VALU_DEP_3) | instskip(NEXT) | instid1(VALU_DEP_3)
	v_subrev_co_ci_u32_e64 v9, null, 0, v6, s2
	v_cmp_le_u32_e64 s2, s18, v8
	v_add_nc_u64_e32 v[6:7], 2, v[2:3]
	v_cndmask_b32_e64 v12, 0, -1, vcc_lo
	s_delay_alu instid0(VALU_DEP_4) | instskip(SKIP_3) | instid1(VALU_DEP_1)
	v_cmp_eq_u32_e32 vcc_lo, s19, v9
	v_add_nc_u64_e32 v[4:5], 1, v[2:3]
	v_cndmask_b32_e64 v8, 0, -1, s2
	v_cmp_le_u32_e64 s2, s19, v9
	v_cndmask_b32_e64 v10, 0, -1, s2
	v_cmp_eq_u32_e64 s2, s19, v11
	s_delay_alu instid0(VALU_DEP_2) | instskip(SKIP_2) | instid1(VALU_DEP_3)
	v_cndmask_b32_e32 v8, v10, v8, vcc_lo
	v_cmp_le_u32_e32 vcc_lo, s19, v11
	v_cndmask_b32_e64 v9, 0, -1, vcc_lo
	v_cmp_ne_u32_e32 vcc_lo, 0, v8
	s_delay_alu instid0(VALU_DEP_2) | instskip(SKIP_1) | instid1(VALU_DEP_2)
	v_dual_cndmask_b32 v8, v9, v12, s2 :: v_dual_cndmask_b32 v4, v4, v6, vcc_lo
	v_cndmask_b32_e32 v5, v5, v7, vcc_lo
	v_cmp_ne_u32_e32 vcc_lo, 0, v8
	s_delay_alu instid0(VALU_DEP_2)
	v_dual_cndmask_b32 v3, v3, v5 :: v_dual_cndmask_b32 v2, v2, v4
.LBB19_3:
	s_and_not1_saveexec_b32 s2, s3
	s_cbranch_execz .LBB19_5
; %bb.4:
	v_cvt_f32_u32_e32 v2, s18
	s_sub_co_i32 s3, 0, s18
	s_delay_alu instid0(VALU_DEP_1) | instskip(SKIP_1) | instid1(TRANS32_DEP_1)
	v_rcp_iflag_f32_e32 v2, v2
	v_nop
	v_mul_f32_e32 v2, 0x4f7ffffe, v2
	s_delay_alu instid0(VALU_DEP_1) | instskip(NEXT) | instid1(VALU_DEP_1)
	v_cvt_u32_f32_e32 v2, v2
	v_mul_lo_u32 v3, s3, v2
	s_delay_alu instid0(VALU_DEP_1) | instskip(NEXT) | instid1(VALU_DEP_1)
	v_mul_hi_u32 v3, v2, v3
	v_add_nc_u32_e32 v2, v2, v3
	s_delay_alu instid0(VALU_DEP_1) | instskip(NEXT) | instid1(VALU_DEP_1)
	v_mul_hi_u32 v2, v0, v2
	v_mul_lo_u32 v3, v2, s18
	s_delay_alu instid0(VALU_DEP_1) | instskip(NEXT) | instid1(VALU_DEP_1)
	v_dual_add_nc_u32 v4, 1, v2 :: v_dual_sub_nc_u32 v3, v0, v3
	v_subrev_nc_u32_e32 v5, s18, v3
	v_cmp_le_u32_e32 vcc_lo, s18, v3
	s_delay_alu instid0(VALU_DEP_2) | instskip(NEXT) | instid1(VALU_DEP_1)
	v_dual_cndmask_b32 v3, v3, v5 :: v_dual_cndmask_b32 v2, v2, v4
	v_cmp_le_u32_e32 vcc_lo, s18, v3
	s_delay_alu instid0(VALU_DEP_2) | instskip(NEXT) | instid1(VALU_DEP_1)
	v_dual_mov_b32 v3, 0 :: v_dual_add_nc_u32 v4, 1, v2
	v_cndmask_b32_e32 v2, v2, v4, vcc_lo
.LBB19_5:
	s_or_b32 exec_lo, exec_lo, s2
	s_delay_alu instid0(VALU_DEP_1) | instskip(SKIP_1) | instid1(VALU_DEP_1)
	v_dual_mov_b32 v6, 0 :: v_dual_bitop2_b32 v7, s21, v3 bitop3:0x54
                                        ; implicit-def: $vgpr4_vgpr5
	s_mov_b32 s2, exec_lo
	v_cmpx_ne_u64_e32 0, v[6:7]
	s_xor_b32 s3, exec_lo, s2
	s_cbranch_execz .LBB19_7
; %bb.6:
	s_cvt_f32_u32 s2, s20
	s_cvt_f32_u32 s26, s21
	s_sub_nc_u64 s[28:29], 0, s[20:21]
	s_mov_b32 s35, 0
	v_dual_mov_b32 v4, v2 :: v_dual_mov_b32 v5, v6
	s_fmamk_f32 s2, s26, 0x4f800000, s2
	v_dual_mov_b32 v8, v3 :: v_dual_mov_b32 v9, v6
	v_dual_mov_b32 v13, v6 :: v_dual_mov_b32 v7, v6
	s_delay_alu instid0(SALU_CYCLE_1) | instskip(NEXT) | instid1(TRANS32_DEP_1)
	v_s_rcp_f32 s2, s2
	s_mul_f32 s2, s2, 0x5f7ffffc
	s_delay_alu instid0(SALU_CYCLE_3) | instskip(NEXT) | instid1(SALU_CYCLE_3)
	s_mul_f32 s26, s2, 0x2f800000
	s_trunc_f32 s26, s26
	s_delay_alu instid0(SALU_CYCLE_3) | instskip(SKIP_1) | instid1(SALU_CYCLE_2)
	s_fmamk_f32 s2, s26, 0xcf800000, s2
	s_cvt_u32_f32 s27, s26
	s_cvt_u32_f32 s26, s2
	s_delay_alu instid0(SALU_CYCLE_3) | instskip(NEXT) | instid1(SALU_CYCLE_1)
	s_mul_u64 s[30:31], s[28:29], s[26:27]
	s_mul_hi_u32 s37, s26, s31
	s_mul_i32 s36, s26, s31
	s_mul_hi_u32 s34, s26, s30
	s_mul_i32 s33, s27, s30
	s_add_nc_u64 s[36:37], s[34:35], s[36:37]
	s_mul_hi_u32 s2, s27, s30
	s_mul_hi_u32 s38, s27, s31
	s_mul_i32 s30, s27, s31
	s_add_co_u32 s31, s36, s33
	s_add_co_ci_u32 s34, s37, s2
	s_add_co_ci_u32 s31, s38, 0
	s_delay_alu instid0(SALU_CYCLE_1) | instskip(NEXT) | instid1(SALU_CYCLE_1)
	s_add_nc_u64 s[30:31], s[34:35], s[30:31]
	s_add_co_u32 s26, s26, s30
	s_cselect_b32 s2, -1, 0
	s_delay_alu instid0(SALU_CYCLE_1) | instskip(SKIP_1) | instid1(SALU_CYCLE_1)
	s_cmp_lg_u32 s2, 0
	s_add_co_ci_u32 s27, s27, s31
	s_mul_u64 s[28:29], s[28:29], s[26:27]
	s_delay_alu instid0(SALU_CYCLE_1)
	s_mul_hi_u32 s31, s26, s29
	s_mul_i32 s30, s26, s29
	s_mul_hi_u32 s34, s26, s28
	s_mul_i32 s33, s27, s28
	s_add_nc_u64 s[30:31], s[34:35], s[30:31]
	s_mul_hi_u32 s2, s27, s28
	s_mul_hi_u32 s36, s27, s29
	s_mul_i32 s28, s27, s29
	s_add_co_u32 s29, s30, s33
	s_add_co_ci_u32 s34, s31, s2
	s_add_co_ci_u32 s29, s36, 0
	s_delay_alu instid0(SALU_CYCLE_1) | instskip(NEXT) | instid1(SALU_CYCLE_1)
	s_add_nc_u64 s[28:29], s[34:35], s[28:29]
	s_add_co_u32 s2, s26, s28
	s_cselect_b32 s26, -1, 0
	v_nop
	v_mul_hi_u32 v12, v2, s2
	s_cmp_lg_u32 s26, 0
	s_add_co_ci_u32 s34, s27, s29
	s_mov_b64 s[26:27], 0xffffffff
	v_mul_u64_e32 v[4:5], s[34:35], v[4:5]
	s_and_b64 s[26:27], s[2:3], s[26:27]
	s_delay_alu instid0(SALU_CYCLE_1) | instskip(SKIP_1) | instid1(VALU_DEP_3)
	v_mul_u64_e32 v[10:11], s[26:27], v[8:9]
	v_mul_u64_e32 v[8:9], s[34:35], v[8:9]
	v_add_nc_u64_e32 v[4:5], v[12:13], v[4:5]
	s_delay_alu instid0(VALU_DEP_1) | instskip(NEXT) | instid1(VALU_DEP_2)
	v_add_co_u32 v4, vcc_lo, v4, v10
	v_add_co_ci_u32_e32 v6, vcc_lo, v5, v11, vcc_lo
	s_delay_alu instid0(VALU_DEP_4) | instskip(NEXT) | instid1(VALU_DEP_1)
	v_add_co_ci_u32_e32 v9, vcc_lo, 0, v9, vcc_lo
	v_add_nc_u64_e32 v[4:5], v[6:7], v[8:9]
	s_delay_alu instid0(VALU_DEP_1) | instskip(NEXT) | instid1(VALU_DEP_1)
	v_mul_u64_e32 v[6:7], s[20:21], v[4:5]
	v_sub_nc_u32_e32 v8, v3, v7
	s_delay_alu instid0(VALU_DEP_2) | instskip(NEXT) | instid1(VALU_DEP_1)
	v_sub_co_u32 v2, vcc_lo, v2, v6
	v_sub_co_ci_u32_e64 v7, null, v3, v7, vcc_lo
	s_delay_alu instid0(VALU_DEP_3) | instskip(NEXT) | instid1(VALU_DEP_3)
	v_subrev_co_ci_u32_e64 v6, null, s21, v8, vcc_lo
	v_sub_co_u32 v10, s2, v2, s20
	v_cmp_le_u32_e32 vcc_lo, s20, v2
	s_delay_alu instid0(VALU_DEP_3) | instskip(NEXT) | instid1(VALU_DEP_3)
	v_subrev_co_ci_u32_e64 v6, null, 0, v6, s2
	v_cmp_le_u32_e64 s2, s20, v10
	v_add_nc_u64_e32 v[8:9], 2, v[4:5]
	v_cndmask_b32_e64 v12, 0, -1, vcc_lo
	s_delay_alu instid0(VALU_DEP_4) | instskip(SKIP_3) | instid1(VALU_DEP_1)
	v_cmp_eq_u32_e32 vcc_lo, s21, v6
	v_add_nc_u64_e32 v[2:3], 1, v[4:5]
	v_cndmask_b32_e64 v10, 0, -1, s2
	v_cmp_le_u32_e64 s2, s21, v6
	v_cndmask_b32_e64 v11, 0, -1, s2
	v_cmp_eq_u32_e64 s2, s21, v7
	s_delay_alu instid0(VALU_DEP_2) | instskip(SKIP_2) | instid1(VALU_DEP_3)
	v_cndmask_b32_e32 v6, v11, v10, vcc_lo
	v_cmp_le_u32_e32 vcc_lo, s21, v7
	v_cndmask_b32_e64 v10, 0, -1, vcc_lo
	v_cmp_ne_u32_e32 vcc_lo, 0, v6
	s_delay_alu instid0(VALU_DEP_2) | instskip(SKIP_1) | instid1(VALU_DEP_2)
	v_cndmask_b32_e64 v6, v10, v12, s2
	v_dual_cndmask_b32 v2, v2, v8 :: v_dual_cndmask_b32 v3, v3, v9
	v_cmp_ne_u32_e32 vcc_lo, 0, v6
	s_delay_alu instid0(VALU_DEP_2)
	v_dual_cndmask_b32 v4, v4, v2 :: v_dual_cndmask_b32 v5, v5, v3
                                        ; implicit-def: $vgpr2_vgpr3
.LBB19_7:
	s_and_not1_saveexec_b32 s2, s3
	s_cbranch_execz .LBB19_9
; %bb.8:
	v_cvt_f32_u32_e32 v3, s20
	s_sub_co_i32 s3, 0, s20
	s_delay_alu instid0(VALU_DEP_1) | instskip(SKIP_1) | instid1(TRANS32_DEP_1)
	v_rcp_iflag_f32_e32 v3, v3
	v_nop
	v_mul_f32_e32 v3, 0x4f7ffffe, v3
	s_delay_alu instid0(VALU_DEP_1) | instskip(NEXT) | instid1(VALU_DEP_1)
	v_cvt_u32_f32_e32 v3, v3
	v_mul_lo_u32 v4, s3, v3
	s_delay_alu instid0(VALU_DEP_1) | instskip(NEXT) | instid1(VALU_DEP_1)
	v_mul_hi_u32 v4, v3, v4
	v_add_nc_u32_e32 v3, v3, v4
	s_delay_alu instid0(VALU_DEP_1) | instskip(NEXT) | instid1(VALU_DEP_1)
	v_mul_hi_u32 v3, v2, v3
	v_mul_lo_u32 v4, v3, s20
	s_delay_alu instid0(VALU_DEP_1) | instskip(NEXT) | instid1(VALU_DEP_1)
	v_dual_sub_nc_u32 v2, v2, v4 :: v_dual_add_nc_u32 v4, 1, v3
	v_subrev_nc_u32_e32 v5, s20, v2
	v_cmp_le_u32_e32 vcc_lo, s20, v2
	s_delay_alu instid0(VALU_DEP_2) | instskip(NEXT) | instid1(VALU_DEP_4)
	v_dual_cndmask_b32 v2, v2, v5 :: v_dual_mov_b32 v5, 0
	v_cndmask_b32_e32 v3, v3, v4, vcc_lo
	s_delay_alu instid0(VALU_DEP_2) | instskip(NEXT) | instid1(VALU_DEP_2)
	v_cmp_le_u32_e32 vcc_lo, s20, v2
	v_add_nc_u32_e32 v4, 1, v3
	s_delay_alu instid0(VALU_DEP_1)
	v_cndmask_b32_e32 v4, v3, v4, vcc_lo
.LBB19_9:
	s_or_b32 exec_lo, exec_lo, s2
	s_delay_alu instid0(VALU_DEP_1) | instskip(SKIP_1) | instid1(VALU_DEP_1)
	v_dual_mov_b32 v6, 0 :: v_dual_bitop2_b32 v7, s17, v5 bitop3:0x54
                                        ; implicit-def: $vgpr2_vgpr3
	s_mov_b32 s2, exec_lo
	v_cmpx_ne_u64_e32 0, v[6:7]
	s_xor_b32 s3, exec_lo, s2
	s_cbranch_execz .LBB19_11
; %bb.10:
	s_cvt_f32_u32 s2, s16
	s_cvt_f32_u32 s26, s17
	s_sub_nc_u64 s[28:29], 0, s[16:17]
	s_mov_b32 s35, 0
	v_dual_mov_b32 v2, v4 :: v_dual_mov_b32 v3, v6
	s_fmamk_f32 s2, s26, 0x4f800000, s2
	v_dual_mov_b32 v8, v5 :: v_dual_mov_b32 v9, v6
	v_dual_mov_b32 v13, v6 :: v_dual_mov_b32 v7, v6
	s_delay_alu instid0(SALU_CYCLE_1) | instskip(NEXT) | instid1(TRANS32_DEP_1)
	v_s_rcp_f32 s2, s2
	s_mul_f32 s2, s2, 0x5f7ffffc
	s_delay_alu instid0(SALU_CYCLE_3) | instskip(NEXT) | instid1(SALU_CYCLE_3)
	s_mul_f32 s26, s2, 0x2f800000
	s_trunc_f32 s26, s26
	s_delay_alu instid0(SALU_CYCLE_3) | instskip(SKIP_1) | instid1(SALU_CYCLE_2)
	s_fmamk_f32 s2, s26, 0xcf800000, s2
	s_cvt_u32_f32 s27, s26
	s_cvt_u32_f32 s26, s2
	s_delay_alu instid0(SALU_CYCLE_3) | instskip(NEXT) | instid1(SALU_CYCLE_1)
	s_mul_u64 s[30:31], s[28:29], s[26:27]
	s_mul_hi_u32 s37, s26, s31
	s_mul_i32 s36, s26, s31
	s_mul_hi_u32 s34, s26, s30
	s_mul_i32 s33, s27, s30
	s_add_nc_u64 s[36:37], s[34:35], s[36:37]
	s_mul_hi_u32 s2, s27, s30
	s_mul_hi_u32 s38, s27, s31
	s_mul_i32 s30, s27, s31
	s_add_co_u32 s31, s36, s33
	s_add_co_ci_u32 s34, s37, s2
	s_add_co_ci_u32 s31, s38, 0
	s_delay_alu instid0(SALU_CYCLE_1) | instskip(NEXT) | instid1(SALU_CYCLE_1)
	s_add_nc_u64 s[30:31], s[34:35], s[30:31]
	s_add_co_u32 s26, s26, s30
	s_cselect_b32 s2, -1, 0
	s_delay_alu instid0(SALU_CYCLE_1) | instskip(SKIP_1) | instid1(SALU_CYCLE_1)
	s_cmp_lg_u32 s2, 0
	s_add_co_ci_u32 s27, s27, s31
	s_mul_u64 s[28:29], s[28:29], s[26:27]
	s_delay_alu instid0(SALU_CYCLE_1)
	s_mul_hi_u32 s31, s26, s29
	s_mul_i32 s30, s26, s29
	s_mul_hi_u32 s34, s26, s28
	s_mul_i32 s33, s27, s28
	s_add_nc_u64 s[30:31], s[34:35], s[30:31]
	s_mul_hi_u32 s2, s27, s28
	s_mul_hi_u32 s36, s27, s29
	s_mul_i32 s28, s27, s29
	s_add_co_u32 s29, s30, s33
	s_add_co_ci_u32 s34, s31, s2
	s_add_co_ci_u32 s29, s36, 0
	s_delay_alu instid0(SALU_CYCLE_1) | instskip(NEXT) | instid1(SALU_CYCLE_1)
	s_add_nc_u64 s[28:29], s[34:35], s[28:29]
	s_add_co_u32 s2, s26, s28
	s_cselect_b32 s26, -1, 0
	v_nop
	v_mul_hi_u32 v12, v4, s2
	s_cmp_lg_u32 s26, 0
	s_add_co_ci_u32 s34, s27, s29
	s_mov_b64 s[26:27], 0xffffffff
	v_mul_u64_e32 v[2:3], s[34:35], v[2:3]
	s_and_b64 s[26:27], s[2:3], s[26:27]
	s_delay_alu instid0(SALU_CYCLE_1) | instskip(SKIP_1) | instid1(VALU_DEP_3)
	v_mul_u64_e32 v[10:11], s[26:27], v[8:9]
	v_mul_u64_e32 v[8:9], s[34:35], v[8:9]
	v_add_nc_u64_e32 v[2:3], v[12:13], v[2:3]
	s_delay_alu instid0(VALU_DEP_1) | instskip(NEXT) | instid1(VALU_DEP_2)
	v_add_co_u32 v2, vcc_lo, v2, v10
	v_add_co_ci_u32_e32 v6, vcc_lo, v3, v11, vcc_lo
	s_delay_alu instid0(VALU_DEP_4) | instskip(NEXT) | instid1(VALU_DEP_1)
	v_add_co_ci_u32_e32 v9, vcc_lo, 0, v9, vcc_lo
	v_add_nc_u64_e32 v[2:3], v[6:7], v[8:9]
	s_delay_alu instid0(VALU_DEP_1) | instskip(NEXT) | instid1(VALU_DEP_1)
	v_mul_u64_e32 v[2:3], s[16:17], v[2:3]
	v_sub_nc_u32_e32 v6, v5, v3
	s_delay_alu instid0(VALU_DEP_2) | instskip(NEXT) | instid1(VALU_DEP_1)
	v_sub_co_u32 v2, vcc_lo, v4, v2
	v_sub_co_ci_u32_e64 v3, null, v5, v3, vcc_lo
	s_delay_alu instid0(VALU_DEP_3) | instskip(NEXT) | instid1(VALU_DEP_3)
	v_subrev_co_ci_u32_e64 v4, null, s17, v6, vcc_lo
	v_sub_co_u32 v5, vcc_lo, v2, s16
	v_cmp_le_u32_e64 s2, s16, v2
	s_delay_alu instid0(VALU_DEP_3) | instskip(SKIP_1) | instid1(VALU_DEP_3)
	v_subrev_co_ci_u32_e64 v6, null, 0, v4, vcc_lo
	v_subrev_co_ci_u32_e64 v4, null, s17, v4, vcc_lo
	v_cndmask_b32_e64 v7, 0, -1, s2
	v_cmp_le_u32_e64 s2, s16, v5
	v_cmp_le_u32_e32 vcc_lo, s17, v3
	s_delay_alu instid0(VALU_DEP_2) | instskip(SKIP_3) | instid1(VALU_DEP_3)
	v_cndmask_b32_e64 v8, 0, -1, s2
	v_cmp_le_u32_e64 s2, s17, v6
	v_cndmask_b32_e64 v10, 0, -1, vcc_lo
	v_cmp_eq_u32_e32 vcc_lo, s17, v6
	v_cndmask_b32_e64 v9, 0, -1, s2
	s_delay_alu instid0(VALU_DEP_1) | instskip(SKIP_1) | instid1(VALU_DEP_1)
	v_cndmask_b32_e32 v6, v9, v8, vcc_lo
	v_sub_co_u32 v8, vcc_lo, v5, s16
	v_subrev_co_ci_u32_e64 v4, null, 0, v4, vcc_lo
	v_cmp_eq_u32_e32 vcc_lo, s17, v3
	v_cndmask_b32_e32 v3, v10, v7, vcc_lo
	v_cmp_ne_u32_e32 vcc_lo, 0, v6
	v_cndmask_b32_e32 v4, v5, v8, vcc_lo
	s_delay_alu instid0(VALU_DEP_3) | instskip(NEXT) | instid1(VALU_DEP_2)
	v_cmp_ne_u32_e32 vcc_lo, 0, v3
	v_cndmask_b32_e32 v2, v2, v4, vcc_lo
                                        ; implicit-def: $vgpr4_vgpr5
.LBB19_11:
	s_and_not1_saveexec_b32 s2, s3
	s_cbranch_execz .LBB19_13
; %bb.12:
	v_cvt_f32_u32_e32 v2, s16
	s_sub_co_i32 s3, 0, s16
	s_delay_alu instid0(VALU_DEP_1) | instskip(SKIP_1) | instid1(TRANS32_DEP_1)
	v_rcp_iflag_f32_e32 v2, v2
	v_nop
	v_mul_f32_e32 v2, 0x4f7ffffe, v2
	s_delay_alu instid0(VALU_DEP_1) | instskip(NEXT) | instid1(VALU_DEP_1)
	v_cvt_u32_f32_e32 v2, v2
	v_mul_lo_u32 v3, s3, v2
	s_delay_alu instid0(VALU_DEP_1) | instskip(NEXT) | instid1(VALU_DEP_1)
	v_mul_hi_u32 v3, v2, v3
	v_add_nc_u32_e32 v2, v2, v3
	s_delay_alu instid0(VALU_DEP_1) | instskip(NEXT) | instid1(VALU_DEP_1)
	v_mul_hi_u32 v2, v4, v2
	v_mul_lo_u32 v2, v2, s16
	s_delay_alu instid0(VALU_DEP_1) | instskip(NEXT) | instid1(VALU_DEP_1)
	v_sub_nc_u32_e32 v2, v4, v2
	v_subrev_nc_u32_e32 v3, s16, v2
	v_cmp_le_u32_e32 vcc_lo, s16, v2
	s_delay_alu instid0(VALU_DEP_2) | instskip(NEXT) | instid1(VALU_DEP_1)
	v_cndmask_b32_e32 v2, v2, v3, vcc_lo
	v_subrev_nc_u32_e32 v3, s16, v2
	v_cmp_le_u32_e32 vcc_lo, s16, v2
	s_delay_alu instid0(VALU_DEP_2)
	v_cndmask_b32_e32 v2, v2, v3, vcc_lo
.LBB19_13:
	s_or_b32 exec_lo, exec_lo, s2
	v_dual_mov_b32 v6, 0 :: v_dual_bitop2_b32 v7, s21, v1 bitop3:0x54
                                        ; implicit-def: $vgpr4_vgpr5
	s_mov_b32 s2, exec_lo
	s_delay_alu instid0(VALU_DEP_1)
	v_cmpx_ne_u64_e32 0, v[6:7]
	s_xor_b32 s3, exec_lo, s2
	s_cbranch_execz .LBB19_15
; %bb.14:
	s_cvt_f32_u32 s2, s20
	s_cvt_f32_u32 s16, s21
	s_sub_nc_u64 s[26:27], 0, s[20:21]
	s_mov_b32 s31, 0
	v_dual_mov_b32 v4, v0 :: v_dual_mov_b32 v5, v6
	s_fmamk_f32 s2, s16, 0x4f800000, s2
	v_dual_mov_b32 v8, v1 :: v_dual_mov_b32 v9, v6
	v_dual_mov_b32 v13, v6 :: v_dual_mov_b32 v7, v6
	s_delay_alu instid0(SALU_CYCLE_1) | instskip(NEXT) | instid1(TRANS32_DEP_1)
	v_s_rcp_f32 s2, s2
	s_mul_f32 s2, s2, 0x5f7ffffc
	s_delay_alu instid0(SALU_CYCLE_3) | instskip(NEXT) | instid1(SALU_CYCLE_3)
	s_mul_f32 s16, s2, 0x2f800000
	s_trunc_f32 s16, s16
	s_delay_alu instid0(SALU_CYCLE_3) | instskip(SKIP_1) | instid1(SALU_CYCLE_2)
	s_fmamk_f32 s2, s16, 0xcf800000, s2
	s_cvt_u32_f32 s17, s16
	s_cvt_u32_f32 s16, s2
	s_delay_alu instid0(SALU_CYCLE_3) | instskip(NEXT) | instid1(SALU_CYCLE_1)
	s_mul_u64 s[28:29], s[26:27], s[16:17]
	s_mul_hi_u32 s35, s16, s29
	s_mul_i32 s34, s16, s29
	s_mul_hi_u32 s30, s16, s28
	s_mul_i32 s33, s17, s28
	s_add_nc_u64 s[34:35], s[30:31], s[34:35]
	s_mul_hi_u32 s2, s17, s28
	s_mul_hi_u32 s36, s17, s29
	s_mul_i32 s28, s17, s29
	s_add_co_u32 s29, s34, s33
	s_add_co_ci_u32 s30, s35, s2
	s_add_co_ci_u32 s29, s36, 0
	s_delay_alu instid0(SALU_CYCLE_1) | instskip(NEXT) | instid1(SALU_CYCLE_1)
	s_add_nc_u64 s[28:29], s[30:31], s[28:29]
	s_add_co_u32 s16, s16, s28
	s_cselect_b32 s2, -1, 0
	s_delay_alu instid0(SALU_CYCLE_1) | instskip(SKIP_1) | instid1(SALU_CYCLE_1)
	s_cmp_lg_u32 s2, 0
	s_add_co_ci_u32 s17, s17, s29
	s_mul_u64 s[26:27], s[26:27], s[16:17]
	s_delay_alu instid0(SALU_CYCLE_1)
	s_mul_hi_u32 s29, s16, s27
	s_mul_i32 s28, s16, s27
	s_mul_hi_u32 s30, s16, s26
	s_mul_i32 s33, s17, s26
	s_add_nc_u64 s[28:29], s[30:31], s[28:29]
	s_mul_hi_u32 s2, s17, s26
	s_mul_hi_u32 s34, s17, s27
	s_mul_i32 s26, s17, s27
	s_add_co_u32 s27, s28, s33
	s_add_co_ci_u32 s30, s29, s2
	s_add_co_ci_u32 s27, s34, 0
	s_delay_alu instid0(SALU_CYCLE_1) | instskip(NEXT) | instid1(SALU_CYCLE_1)
	s_add_nc_u64 s[26:27], s[30:31], s[26:27]
	s_add_co_u32 s2, s16, s26
	s_cselect_b32 s16, -1, 0
	v_nop
	v_mul_hi_u32 v12, v0, s2
	s_cmp_lg_u32 s16, 0
	s_add_co_ci_u32 s30, s17, s27
	s_mov_b64 s[16:17], 0xffffffff
	v_mul_u64_e32 v[4:5], s[30:31], v[4:5]
	s_and_b64 s[16:17], s[2:3], s[16:17]
	s_delay_alu instid0(SALU_CYCLE_1) | instskip(SKIP_1) | instid1(VALU_DEP_3)
	v_mul_u64_e32 v[10:11], s[16:17], v[8:9]
	v_mul_u64_e32 v[8:9], s[30:31], v[8:9]
	v_add_nc_u64_e32 v[4:5], v[12:13], v[4:5]
	s_delay_alu instid0(VALU_DEP_1) | instskip(NEXT) | instid1(VALU_DEP_2)
	v_add_co_u32 v3, vcc_lo, v4, v10
	v_add_co_ci_u32_e32 v6, vcc_lo, v5, v11, vcc_lo
	s_delay_alu instid0(VALU_DEP_4) | instskip(NEXT) | instid1(VALU_DEP_1)
	v_add_co_ci_u32_e32 v9, vcc_lo, 0, v9, vcc_lo
	v_add_nc_u64_e32 v[4:5], v[6:7], v[8:9]
	s_delay_alu instid0(VALU_DEP_1) | instskip(SKIP_1) | instid1(VALU_DEP_2)
	v_mul_u64_e32 v[6:7], s[20:21], v[4:5]
	v_add_nc_u64_e32 v[8:9], 2, v[4:5]
	v_sub_nc_u32_e32 v3, v1, v7
	s_delay_alu instid0(VALU_DEP_3) | instskip(NEXT) | instid1(VALU_DEP_1)
	v_sub_co_u32 v6, vcc_lo, v0, v6
	v_sub_co_ci_u32_e64 v12, null, v1, v7, vcc_lo
	s_delay_alu instid0(VALU_DEP_3) | instskip(NEXT) | instid1(VALU_DEP_3)
	v_subrev_co_ci_u32_e64 v3, null, s21, v3, vcc_lo
	v_sub_co_u32 v10, s2, v6, s20
	v_cmp_le_u32_e32 vcc_lo, s20, v6
	s_delay_alu instid0(VALU_DEP_3) | instskip(NEXT) | instid1(VALU_DEP_3)
	v_subrev_co_ci_u32_e64 v3, null, 0, v3, s2
	v_cmp_le_u32_e64 s2, s20, v10
	v_add_nc_u64_e32 v[6:7], 1, v[4:5]
	v_cndmask_b32_e64 v13, 0, -1, vcc_lo
	s_delay_alu instid0(VALU_DEP_4) | instskip(NEXT) | instid1(VALU_DEP_4)
	v_cmp_eq_u32_e32 vcc_lo, s21, v3
	v_cndmask_b32_e64 v10, 0, -1, s2
	v_cmp_le_u32_e64 s2, s21, v3
	s_delay_alu instid0(VALU_DEP_1) | instskip(SKIP_1) | instid1(VALU_DEP_2)
	v_cndmask_b32_e64 v11, 0, -1, s2
	v_cmp_eq_u32_e64 s2, s21, v12
	v_cndmask_b32_e32 v3, v11, v10, vcc_lo
	v_cmp_le_u32_e32 vcc_lo, s21, v12
	v_cndmask_b32_e64 v10, 0, -1, vcc_lo
	s_delay_alu instid0(VALU_DEP_3) | instskip(SKIP_1) | instid1(VALU_DEP_3)
	v_cmp_ne_u32_e32 vcc_lo, 0, v3
	v_cndmask_b32_e32 v7, v7, v9, vcc_lo
	v_cndmask_b32_e64 v3, v10, v13, s2
	v_cndmask_b32_e32 v6, v6, v8, vcc_lo
	s_delay_alu instid0(VALU_DEP_2) | instskip(NEXT) | instid1(VALU_DEP_2)
	v_cmp_ne_u32_e32 vcc_lo, 0, v3
	v_dual_cndmask_b32 v5, v5, v7 :: v_dual_cndmask_b32 v4, v4, v6
.LBB19_15:
	s_and_not1_saveexec_b32 s2, s3
	s_cbranch_execz .LBB19_17
; %bb.16:
	v_cvt_f32_u32_e32 v3, s20
	s_sub_co_i32 s3, 0, s20
	s_delay_alu instid0(VALU_DEP_1) | instskip(SKIP_1) | instid1(TRANS32_DEP_1)
	v_rcp_iflag_f32_e32 v3, v3
	v_nop
	v_mul_f32_e32 v3, 0x4f7ffffe, v3
	s_delay_alu instid0(VALU_DEP_1) | instskip(NEXT) | instid1(VALU_DEP_1)
	v_cvt_u32_f32_e32 v3, v3
	v_mul_lo_u32 v4, s3, v3
	s_delay_alu instid0(VALU_DEP_1) | instskip(NEXT) | instid1(VALU_DEP_1)
	v_mul_hi_u32 v4, v3, v4
	v_add_nc_u32_e32 v3, v3, v4
	s_delay_alu instid0(VALU_DEP_1) | instskip(NEXT) | instid1(VALU_DEP_1)
	v_mul_hi_u32 v3, v0, v3
	v_mul_lo_u32 v4, v3, s20
	s_delay_alu instid0(VALU_DEP_1) | instskip(NEXT) | instid1(VALU_DEP_1)
	v_dual_add_nc_u32 v5, 1, v3 :: v_dual_sub_nc_u32 v4, v0, v4
	v_subrev_nc_u32_e32 v6, s20, v4
	v_cmp_le_u32_e32 vcc_lo, s20, v4
	s_delay_alu instid0(VALU_DEP_2) | instskip(NEXT) | instid1(VALU_DEP_1)
	v_dual_cndmask_b32 v4, v4, v6 :: v_dual_cndmask_b32 v3, v3, v5
	v_cmp_le_u32_e32 vcc_lo, s20, v4
	s_delay_alu instid0(VALU_DEP_2) | instskip(NEXT) | instid1(VALU_DEP_1)
	v_add_nc_u32_e32 v5, 1, v3
	v_dual_cndmask_b32 v4, v3, v5 :: v_dual_mov_b32 v5, 0
.LBB19_17:
	s_or_b32 exec_lo, exec_lo, s2
	s_delay_alu instid0(VALU_DEP_1) | instskip(SKIP_1) | instid1(VALU_DEP_1)
	v_dual_mov_b32 v8, 0 :: v_dual_bitop2_b32 v9, s19, v5 bitop3:0x54
                                        ; implicit-def: $vgpr6_vgpr7
	s_mov_b32 s2, exec_lo
	v_cmpx_ne_u64_e32 0, v[8:9]
	s_xor_b32 s3, exec_lo, s2
	s_cbranch_execnz .LBB19_20
; %bb.18:
	s_and_not1_saveexec_b32 s2, s3
	s_cbranch_execnz .LBB19_21
.LBB19_19:
	s_or_b32 exec_lo, exec_lo, s2
	s_cmp_eq_u64 s[6:7], 0
	s_cbranch_scc0 .LBB19_22
	s_branch .LBB19_44
.LBB19_20:
	s_cvt_f32_u32 s2, s18
	s_cvt_f32_u32 s16, s19
	s_sub_nc_u64 s[26:27], 0, s[18:19]
	s_mov_b32 s31, 0
	v_dual_mov_b32 v6, v4 :: v_dual_mov_b32 v7, v8
	s_fmamk_f32 s2, s16, 0x4f800000, s2
	v_dual_mov_b32 v10, v5 :: v_dual_mov_b32 v11, v8
	v_dual_mov_b32 v15, v8 :: v_dual_mov_b32 v9, v8
	s_delay_alu instid0(SALU_CYCLE_1) | instskip(NEXT) | instid1(TRANS32_DEP_1)
	v_s_rcp_f32 s2, s2
	s_mul_f32 s2, s2, 0x5f7ffffc
	s_delay_alu instid0(SALU_CYCLE_3) | instskip(NEXT) | instid1(SALU_CYCLE_3)
	s_mul_f32 s16, s2, 0x2f800000
	s_trunc_f32 s16, s16
	s_delay_alu instid0(SALU_CYCLE_3) | instskip(SKIP_1) | instid1(SALU_CYCLE_2)
	s_fmamk_f32 s2, s16, 0xcf800000, s2
	s_cvt_u32_f32 s17, s16
	s_cvt_u32_f32 s16, s2
	s_delay_alu instid0(SALU_CYCLE_3) | instskip(NEXT) | instid1(SALU_CYCLE_1)
	s_mul_u64 s[28:29], s[26:27], s[16:17]
	s_mul_hi_u32 s35, s16, s29
	s_mul_i32 s34, s16, s29
	s_mul_hi_u32 s30, s16, s28
	s_mul_i32 s33, s17, s28
	s_add_nc_u64 s[34:35], s[30:31], s[34:35]
	s_mul_hi_u32 s2, s17, s28
	s_mul_hi_u32 s36, s17, s29
	s_mul_i32 s28, s17, s29
	s_add_co_u32 s29, s34, s33
	s_add_co_ci_u32 s30, s35, s2
	s_add_co_ci_u32 s29, s36, 0
	s_delay_alu instid0(SALU_CYCLE_1) | instskip(NEXT) | instid1(SALU_CYCLE_1)
	s_add_nc_u64 s[28:29], s[30:31], s[28:29]
	s_add_co_u32 s16, s16, s28
	s_cselect_b32 s2, -1, 0
	s_delay_alu instid0(SALU_CYCLE_1) | instskip(SKIP_1) | instid1(SALU_CYCLE_1)
	s_cmp_lg_u32 s2, 0
	s_add_co_ci_u32 s17, s17, s29
	s_mul_u64 s[26:27], s[26:27], s[16:17]
	s_delay_alu instid0(SALU_CYCLE_1)
	s_mul_hi_u32 s29, s16, s27
	s_mul_i32 s28, s16, s27
	s_mul_hi_u32 s30, s16, s26
	s_mul_i32 s33, s17, s26
	s_add_nc_u64 s[28:29], s[30:31], s[28:29]
	s_mul_hi_u32 s2, s17, s26
	s_mul_hi_u32 s34, s17, s27
	s_mul_i32 s26, s17, s27
	s_add_co_u32 s27, s28, s33
	s_add_co_ci_u32 s30, s29, s2
	s_add_co_ci_u32 s27, s34, 0
	s_delay_alu instid0(SALU_CYCLE_1) | instskip(NEXT) | instid1(SALU_CYCLE_1)
	s_add_nc_u64 s[26:27], s[30:31], s[26:27]
	s_add_co_u32 s2, s16, s26
	s_cselect_b32 s16, -1, 0
	v_nop
	v_mul_hi_u32 v14, v4, s2
	s_cmp_lg_u32 s16, 0
	s_add_co_ci_u32 s30, s17, s27
	s_mov_b64 s[16:17], 0xffffffff
	v_mul_u64_e32 v[6:7], s[30:31], v[6:7]
	s_and_b64 s[16:17], s[2:3], s[16:17]
	s_delay_alu instid0(SALU_CYCLE_1) | instskip(SKIP_1) | instid1(VALU_DEP_3)
	v_mul_u64_e32 v[12:13], s[16:17], v[10:11]
	v_mul_u64_e32 v[10:11], s[30:31], v[10:11]
	v_add_nc_u64_e32 v[6:7], v[14:15], v[6:7]
	s_delay_alu instid0(VALU_DEP_1) | instskip(NEXT) | instid1(VALU_DEP_2)
	v_add_co_u32 v3, vcc_lo, v6, v12
	v_add_co_ci_u32_e32 v8, vcc_lo, v7, v13, vcc_lo
	s_delay_alu instid0(VALU_DEP_4) | instskip(NEXT) | instid1(VALU_DEP_1)
	v_add_co_ci_u32_e32 v11, vcc_lo, 0, v11, vcc_lo
	v_add_nc_u64_e32 v[6:7], v[8:9], v[10:11]
	s_delay_alu instid0(VALU_DEP_1) | instskip(NEXT) | instid1(VALU_DEP_1)
	v_mul_u64_e32 v[6:7], s[18:19], v[6:7]
	v_sub_nc_u32_e32 v3, v5, v7
	s_delay_alu instid0(VALU_DEP_2) | instskip(NEXT) | instid1(VALU_DEP_1)
	v_sub_co_u32 v6, vcc_lo, v4, v6
	v_sub_co_ci_u32_e64 v5, null, v5, v7, vcc_lo
	s_delay_alu instid0(VALU_DEP_3) | instskip(NEXT) | instid1(VALU_DEP_3)
	v_subrev_co_ci_u32_e64 v3, null, s19, v3, vcc_lo
	v_sub_co_u32 v7, vcc_lo, v6, s18
	v_cmp_le_u32_e64 s2, s18, v6
	s_delay_alu instid0(VALU_DEP_3) | instskip(SKIP_1) | instid1(VALU_DEP_3)
	v_subrev_co_ci_u32_e64 v8, null, 0, v3, vcc_lo
	v_subrev_co_ci_u32_e64 v3, null, s19, v3, vcc_lo
	v_cndmask_b32_e64 v9, 0, -1, s2
	v_cmp_le_u32_e64 s2, s18, v7
	v_cmp_le_u32_e32 vcc_lo, s19, v5
	s_delay_alu instid0(VALU_DEP_2) | instskip(SKIP_3) | instid1(VALU_DEP_3)
	v_cndmask_b32_e64 v10, 0, -1, s2
	v_cmp_le_u32_e64 s2, s19, v8
	v_cndmask_b32_e64 v12, 0, -1, vcc_lo
	v_cmp_eq_u32_e32 vcc_lo, s19, v8
	v_cndmask_b32_e64 v11, 0, -1, s2
	s_delay_alu instid0(VALU_DEP_1) | instskip(SKIP_1) | instid1(VALU_DEP_1)
	v_cndmask_b32_e32 v8, v11, v10, vcc_lo
	v_sub_co_u32 v10, vcc_lo, v7, s18
	v_subrev_co_ci_u32_e64 v3, null, 0, v3, vcc_lo
	v_cmp_eq_u32_e32 vcc_lo, s19, v5
	v_cndmask_b32_e32 v3, v12, v9, vcc_lo
	v_cmp_ne_u32_e32 vcc_lo, 0, v8
	v_cndmask_b32_e32 v5, v7, v10, vcc_lo
	s_delay_alu instid0(VALU_DEP_3) | instskip(NEXT) | instid1(VALU_DEP_2)
	v_cmp_ne_u32_e32 vcc_lo, 0, v3
	v_cndmask_b32_e32 v6, v6, v5, vcc_lo
	s_and_not1_saveexec_b32 s2, s3
	s_cbranch_execz .LBB19_19
.LBB19_21:
	v_cvt_f32_u32_e32 v3, s18
	s_sub_co_i32 s3, 0, s18
	s_delay_alu instid0(VALU_DEP_1) | instskip(SKIP_1) | instid1(TRANS32_DEP_1)
	v_rcp_iflag_f32_e32 v3, v3
	v_nop
	v_mul_f32_e32 v3, 0x4f7ffffe, v3
	s_delay_alu instid0(VALU_DEP_1) | instskip(NEXT) | instid1(VALU_DEP_1)
	v_cvt_u32_f32_e32 v3, v3
	v_mul_lo_u32 v5, s3, v3
	s_delay_alu instid0(VALU_DEP_1) | instskip(NEXT) | instid1(VALU_DEP_1)
	v_mul_hi_u32 v5, v3, v5
	v_add_nc_u32_e32 v3, v3, v5
	s_delay_alu instid0(VALU_DEP_1) | instskip(NEXT) | instid1(VALU_DEP_1)
	v_mul_hi_u32 v3, v4, v3
	v_mul_lo_u32 v3, v3, s18
	s_delay_alu instid0(VALU_DEP_1) | instskip(NEXT) | instid1(VALU_DEP_1)
	v_sub_nc_u32_e32 v3, v4, v3
	v_subrev_nc_u32_e32 v5, s18, v3
	v_cmp_le_u32_e32 vcc_lo, s18, v3
	s_delay_alu instid0(VALU_DEP_2) | instskip(NEXT) | instid1(VALU_DEP_1)
	v_cndmask_b32_e32 v3, v3, v5, vcc_lo
	v_subrev_nc_u32_e32 v5, s18, v3
	v_cmp_le_u32_e32 vcc_lo, s18, v3
	s_delay_alu instid0(VALU_DEP_2)
	v_cndmask_b32_e32 v6, v3, v5, vcc_lo
	s_or_b32 exec_lo, exec_lo, s2
	s_cmp_eq_u64 s[6:7], 0
	s_cbranch_scc1 .LBB19_44
.LBB19_22:
	s_mul_u64 s[16:17], s[24:25], s[20:21]
                                        ; implicit-def: $vgpr10_vgpr11
	s_mov_b32 s2, exec_lo
	v_dual_mov_b32 v8, 0 :: v_dual_bitop2_b32 v9, s17, v1 bitop3:0x54
	s_delay_alu instid0(VALU_DEP_1)
	v_cmpx_ne_u64_e32 0, v[8:9]
	s_xor_b32 s3, exec_lo, s2
	s_cbranch_execz .LBB19_24
; %bb.23:
	s_ashr_i32 s18, s17, 31
	s_mov_b32 s35, 0
	s_mov_b32 s19, s18
	v_dual_mov_b32 v15, v8 :: v_dual_ashrrev_i32 v10, 31, v1
	s_add_nc_u64 s[24:25], s[16:17], s[18:19]
	v_dual_mov_b32 v23, v8 :: v_dual_mov_b32 v9, v8
	s_xor_b64 s[24:25], s[24:25], s[18:19]
	s_delay_alu instid0(VALU_DEP_2) | instskip(SKIP_3) | instid1(VALU_DEP_1)
	v_mov_b32_e32 v11, v10
	s_cvt_f32_u32 s2, s24
	s_cvt_f32_u32 s19, s25
	s_sub_nc_u64 s[28:29], 0, s[24:25]
	v_add_nc_u64_e32 v[12:13], v[0:1], v[10:11]
	s_delay_alu instid0(SALU_CYCLE_1) | instskip(SKIP_1) | instid1(SALU_CYCLE_2)
	s_fmamk_f32 s2, s19, 0x4f800000, s2
	v_mov_b32_e32 v17, v8
	v_s_rcp_f32 s2, s2
	s_delay_alu instid0(VALU_DEP_2) | instskip(NEXT) | instid1(VALU_DEP_3)
	v_xor_b32_e32 v14, v12, v10
	v_xor_b32_e32 v16, v13, v10
	;; [unrolled: 1-line block ×3, first 2 shown]
	s_delay_alu instid0(TRANS32_DEP_1) | instskip(NEXT) | instid1(SALU_CYCLE_3)
	s_mul_f32 s2, s2, 0x5f7ffffc
	s_mul_f32 s19, s2, 0x2f800000
	s_delay_alu instid0(SALU_CYCLE_3) | instskip(NEXT) | instid1(SALU_CYCLE_3)
	s_trunc_f32 s19, s19
	s_fmamk_f32 s2, s19, 0xcf800000, s2
	s_cvt_u32_f32 s27, s19
	s_delay_alu instid0(SALU_CYCLE_2) | instskip(NEXT) | instid1(SALU_CYCLE_3)
	s_cvt_u32_f32 s26, s2
	s_mul_u64 s[30:31], s[28:29], s[26:27]
	s_delay_alu instid0(SALU_CYCLE_1)
	s_mul_hi_u32 s37, s26, s31
	s_mul_i32 s36, s26, s31
	s_mul_hi_u32 s34, s26, s30
	s_mul_i32 s19, s27, s30
	s_add_nc_u64 s[36:37], s[34:35], s[36:37]
	s_mul_hi_u32 s2, s27, s30
	s_mul_hi_u32 s21, s27, s31
	s_add_co_u32 s19, s36, s19
	s_add_co_ci_u32 s34, s37, s2
	s_mul_i32 s30, s27, s31
	s_add_co_ci_u32 s31, s21, 0
	s_delay_alu instid0(SALU_CYCLE_1) | instskip(NEXT) | instid1(SALU_CYCLE_1)
	s_add_nc_u64 s[30:31], s[34:35], s[30:31]
	s_add_co_u32 s26, s26, s30
	s_cselect_b32 s2, -1, 0
	s_delay_alu instid0(SALU_CYCLE_1) | instskip(SKIP_1) | instid1(SALU_CYCLE_1)
	s_cmp_lg_u32 s2, 0
	s_add_co_ci_u32 s27, s27, s31
	s_mul_u64 s[28:29], s[28:29], s[26:27]
	s_delay_alu instid0(SALU_CYCLE_1)
	s_mul_hi_u32 s31, s26, s29
	s_mul_i32 s30, s26, s29
	s_mul_hi_u32 s34, s26, s28
	s_mul_i32 s19, s27, s28
	s_add_nc_u64 s[30:31], s[34:35], s[30:31]
	s_mul_hi_u32 s2, s27, s28
	s_mul_hi_u32 s21, s27, s29
	s_add_co_u32 s19, s30, s19
	s_add_co_ci_u32 s34, s31, s2
	s_mul_i32 s28, s27, s29
	s_add_co_ci_u32 s29, s21, 0
	s_delay_alu instid0(SALU_CYCLE_1) | instskip(NEXT) | instid1(SALU_CYCLE_1)
	s_add_nc_u64 s[28:29], s[34:35], s[28:29]
	s_add_co_u32 s2, s26, s28
	s_cselect_b32 s19, -1, 0
	v_mul_hi_u32 v22, v14, s2
	s_cmp_lg_u32 s19, 0
	s_add_co_ci_u32 s34, s27, s29
	s_mov_b64 s[26:27], 0xffffffff
	v_mul_u64_e32 v[18:19], s[34:35], v[14:15]
	s_and_b64 s[26:27], s[2:3], s[26:27]
	v_mul_u64_e32 v[20:21], s[34:35], v[16:17]
	v_mul_u64_e32 v[12:13], s[26:27], v[16:17]
	s_delay_alu instid0(VALU_DEP_3) | instskip(NEXT) | instid1(VALU_DEP_1)
	v_add_nc_u64_e32 v[18:19], v[22:23], v[18:19]
	v_add_co_u32 v3, vcc_lo, v18, v12
	s_delay_alu instid0(VALU_DEP_2) | instskip(SKIP_1) | instid1(VALU_DEP_1)
	v_add_co_ci_u32_e32 v8, vcc_lo, v19, v13, vcc_lo
	v_add_co_ci_u32_e32 v21, vcc_lo, 0, v21, vcc_lo
	v_add_nc_u64_e32 v[8:9], v[8:9], v[20:21]
	s_delay_alu instid0(VALU_DEP_1) | instskip(NEXT) | instid1(VALU_DEP_1)
	v_mul_u64_e32 v[12:13], s[24:25], v[8:9]
	v_sub_co_u32 v5, vcc_lo, v14, v12
	v_add_nc_u64_e32 v[14:15], 1, v[8:9]
	s_delay_alu instid0(VALU_DEP_3) | instskip(SKIP_1) | instid1(VALU_DEP_4)
	v_sub_nc_u32_e32 v3, v16, v13
	v_sub_co_ci_u32_e64 v11, null, v16, v13, vcc_lo
	v_sub_co_u32 v7, s2, v5, s24
	s_delay_alu instid0(VALU_DEP_3) | instskip(NEXT) | instid1(VALU_DEP_2)
	v_subrev_co_ci_u32_e64 v3, null, s25, v3, vcc_lo
	v_cmp_le_u32_e32 vcc_lo, s24, v7
	s_delay_alu instid0(VALU_DEP_2) | instskip(SKIP_1) | instid1(VALU_DEP_2)
	v_subrev_co_ci_u32_e64 v3, null, 0, v3, s2
	v_cndmask_b32_e64 v7, 0, -1, vcc_lo
	v_cmp_le_u32_e32 vcc_lo, s25, v3
	v_cndmask_b32_e64 v12, 0, -1, vcc_lo
	v_cmp_le_u32_e32 vcc_lo, s24, v5
	;; [unrolled: 2-line block ×3, first 2 shown]
	v_cndmask_b32_e64 v16, 0, -1, vcc_lo
	v_cmp_eq_u32_e32 vcc_lo, s25, v3
	v_cndmask_b32_e32 v3, v12, v7, vcc_lo
	v_cmp_eq_u32_e32 vcc_lo, s25, v11
	v_add_nc_u64_e32 v[12:13], 2, v[8:9]
	v_dual_mov_b32 v11, v10 :: v_dual_cndmask_b32 v5, v16, v5, vcc_lo
	s_delay_alu instid0(VALU_DEP_4) | instskip(NEXT) | instid1(VALU_DEP_2)
	v_cmp_ne_u32_e32 vcc_lo, 0, v3
	v_cmp_ne_u32_e64 s2, 0, v5
	s_delay_alu instid0(VALU_DEP_4) | instskip(NEXT) | instid1(VALU_DEP_1)
	v_dual_cndmask_b32 v3, v15, v13, vcc_lo :: v_dual_cndmask_b32 v5, v14, v12, vcc_lo
	v_dual_cndmask_b32 v3, v9, v3, s2 :: v_dual_cndmask_b32 v5, v8, v5, s2
	s_delay_alu instid0(VALU_DEP_1) | instskip(NEXT) | instid1(VALU_DEP_2)
	v_xor_b32_e32 v9, v3, v10
	v_xor_b32_e32 v8, v5, v10
	s_delay_alu instid0(VALU_DEP_1)
	v_sub_nc_u64_e32 v[10:11], v[8:9], v[10:11]
.LBB19_24:
	s_and_not1_saveexec_b32 s2, s3
	s_cbranch_execz .LBB19_26
; %bb.25:
	v_cvt_f32_u32_e32 v3, s16
	s_sub_co_i32 s3, 0, s16
	v_mov_b32_e32 v11, 0
	s_delay_alu instid0(VALU_DEP_2) | instskip(SKIP_1) | instid1(TRANS32_DEP_1)
	v_rcp_iflag_f32_e32 v3, v3
	v_nop
	v_mul_f32_e32 v3, 0x4f7ffffe, v3
	s_delay_alu instid0(VALU_DEP_1) | instskip(NEXT) | instid1(VALU_DEP_1)
	v_cvt_u32_f32_e32 v3, v3
	v_mul_lo_u32 v5, s3, v3
	s_delay_alu instid0(VALU_DEP_1) | instskip(NEXT) | instid1(VALU_DEP_1)
	v_mul_hi_u32 v5, v3, v5
	v_add_nc_u32_e32 v3, v3, v5
	s_delay_alu instid0(VALU_DEP_1) | instskip(NEXT) | instid1(VALU_DEP_1)
	v_mul_hi_u32 v3, v0, v3
	v_mul_lo_u32 v5, v3, s16
	s_delay_alu instid0(VALU_DEP_1) | instskip(NEXT) | instid1(VALU_DEP_1)
	v_sub_nc_u32_e32 v5, v0, v5
	v_subrev_nc_u32_e32 v8, s16, v5
	v_cmp_le_u32_e32 vcc_lo, s16, v5
	s_delay_alu instid0(VALU_DEP_2) | instskip(NEXT) | instid1(VALU_DEP_1)
	v_dual_add_nc_u32 v7, 1, v3 :: v_dual_cndmask_b32 v5, v5, v8, vcc_lo
	v_cndmask_b32_e32 v3, v3, v7, vcc_lo
	s_delay_alu instid0(VALU_DEP_2) | instskip(NEXT) | instid1(VALU_DEP_2)
	v_cmp_le_u32_e32 vcc_lo, s16, v5
	v_add_nc_u32_e32 v7, 1, v3
	s_delay_alu instid0(VALU_DEP_1)
	v_cndmask_b32_e32 v10, v3, v7, vcc_lo
.LBB19_26:
	s_or_b32 exec_lo, exec_lo, s2
	s_delay_alu instid0(VALU_DEP_1) | instskip(SKIP_1) | instid1(VALU_DEP_1)
	v_dual_mov_b32 v12, 0 :: v_dual_bitop2_b32 v13, s9, v11 bitop3:0x54
                                        ; implicit-def: $vgpr8_vgpr9
	s_mov_b32 s2, exec_lo
	v_cmpx_ne_u64_e32 0, v[12:13]
	s_xor_b32 s3, exec_lo, s2
	s_cbranch_execz .LBB19_28
; %bb.27:
	s_cvt_f32_u32 s2, s8
	s_cvt_f32_u32 s18, s9
	s_sub_nc_u64 s[24:25], 0, s[8:9]
	s_mov_b32 s29, 0
	v_dual_mov_b32 v8, v10 :: v_dual_mov_b32 v9, v12
	s_fmamk_f32 s2, s18, 0x4f800000, s2
	v_dual_mov_b32 v14, v11 :: v_dual_mov_b32 v15, v12
	v_dual_mov_b32 v19, v12 :: v_dual_mov_b32 v13, v12
	s_delay_alu instid0(SALU_CYCLE_1) | instskip(NEXT) | instid1(TRANS32_DEP_1)
	v_s_rcp_f32 s2, s2
	s_mul_f32 s2, s2, 0x5f7ffffc
	s_delay_alu instid0(SALU_CYCLE_3) | instskip(NEXT) | instid1(SALU_CYCLE_3)
	s_mul_f32 s18, s2, 0x2f800000
	s_trunc_f32 s18, s18
	s_delay_alu instid0(SALU_CYCLE_3) | instskip(SKIP_1) | instid1(SALU_CYCLE_2)
	s_fmamk_f32 s2, s18, 0xcf800000, s2
	s_cvt_u32_f32 s19, s18
	s_cvt_u32_f32 s18, s2
	s_delay_alu instid0(SALU_CYCLE_3) | instskip(NEXT) | instid1(SALU_CYCLE_1)
	s_mul_u64 s[26:27], s[24:25], s[18:19]
	s_mul_hi_u32 s31, s18, s27
	s_mul_i32 s30, s18, s27
	s_mul_hi_u32 s28, s18, s26
	s_mul_i32 s21, s19, s26
	s_add_nc_u64 s[30:31], s[28:29], s[30:31]
	s_mul_hi_u32 s2, s19, s26
	s_mul_hi_u32 s33, s19, s27
	s_add_co_u32 s21, s30, s21
	s_add_co_ci_u32 s28, s31, s2
	s_mul_i32 s26, s19, s27
	s_add_co_ci_u32 s27, s33, 0
	s_delay_alu instid0(SALU_CYCLE_1) | instskip(NEXT) | instid1(SALU_CYCLE_1)
	s_add_nc_u64 s[26:27], s[28:29], s[26:27]
	s_add_co_u32 s18, s18, s26
	s_cselect_b32 s2, -1, 0
	s_delay_alu instid0(SALU_CYCLE_1) | instskip(SKIP_1) | instid1(SALU_CYCLE_1)
	s_cmp_lg_u32 s2, 0
	s_add_co_ci_u32 s19, s19, s27
	s_mul_u64 s[24:25], s[24:25], s[18:19]
	s_delay_alu instid0(SALU_CYCLE_1)
	s_mul_hi_u32 s27, s18, s25
	s_mul_i32 s26, s18, s25
	s_mul_hi_u32 s28, s18, s24
	s_mul_i32 s21, s19, s24
	s_add_nc_u64 s[26:27], s[28:29], s[26:27]
	s_mul_hi_u32 s2, s19, s24
	s_mul_hi_u32 s30, s19, s25
	s_add_co_u32 s21, s26, s21
	s_add_co_ci_u32 s28, s27, s2
	s_mul_i32 s24, s19, s25
	s_add_co_ci_u32 s25, s30, 0
	s_delay_alu instid0(SALU_CYCLE_1) | instskip(NEXT) | instid1(SALU_CYCLE_1)
	s_add_nc_u64 s[24:25], s[28:29], s[24:25]
	s_add_co_u32 s2, s18, s24
	s_cselect_b32 s18, -1, 0
	v_nop
	v_mul_hi_u32 v18, v10, s2
	s_cmp_lg_u32 s18, 0
	s_add_co_ci_u32 s28, s19, s25
	s_mov_b64 s[18:19], 0xffffffff
	v_mul_u64_e32 v[8:9], s[28:29], v[8:9]
	s_and_b64 s[18:19], s[2:3], s[18:19]
	s_delay_alu instid0(SALU_CYCLE_1) | instskip(SKIP_1) | instid1(VALU_DEP_3)
	v_mul_u64_e32 v[16:17], s[18:19], v[14:15]
	v_mul_u64_e32 v[14:15], s[28:29], v[14:15]
	v_add_nc_u64_e32 v[8:9], v[18:19], v[8:9]
	s_delay_alu instid0(VALU_DEP_1) | instskip(NEXT) | instid1(VALU_DEP_2)
	v_add_co_u32 v3, vcc_lo, v8, v16
	v_add_co_ci_u32_e32 v12, vcc_lo, v9, v17, vcc_lo
	s_delay_alu instid0(VALU_DEP_4) | instskip(NEXT) | instid1(VALU_DEP_1)
	v_add_co_ci_u32_e32 v15, vcc_lo, 0, v15, vcc_lo
	v_add_nc_u64_e32 v[8:9], v[12:13], v[14:15]
	s_delay_alu instid0(VALU_DEP_1) | instskip(NEXT) | instid1(VALU_DEP_1)
	v_mul_u64_e32 v[8:9], s[8:9], v[8:9]
	v_sub_nc_u32_e32 v3, v11, v9
	s_delay_alu instid0(VALU_DEP_2) | instskip(NEXT) | instid1(VALU_DEP_1)
	v_sub_co_u32 v5, vcc_lo, v10, v8
	v_sub_co_ci_u32_e64 v7, null, v11, v9, vcc_lo
	s_delay_alu instid0(VALU_DEP_3) | instskip(NEXT) | instid1(VALU_DEP_3)
	v_subrev_co_ci_u32_e64 v3, null, s9, v3, vcc_lo
	v_sub_co_u32 v8, vcc_lo, v5, s8
	v_cmp_le_u32_e64 s2, s8, v5
	s_delay_alu instid0(VALU_DEP_3) | instskip(SKIP_1) | instid1(VALU_DEP_3)
	v_subrev_co_ci_u32_e64 v9, null, 0, v3, vcc_lo
	v_subrev_co_ci_u32_e64 v3, null, s9, v3, vcc_lo
	v_cndmask_b32_e64 v10, 0, -1, s2
	v_cmp_le_u32_e64 s2, s8, v8
	v_cmp_le_u32_e32 vcc_lo, s9, v7
	s_delay_alu instid0(VALU_DEP_2) | instskip(SKIP_3) | instid1(VALU_DEP_3)
	v_cndmask_b32_e64 v11, 0, -1, s2
	v_cmp_le_u32_e64 s2, s9, v9
	v_cndmask_b32_e64 v13, 0, -1, vcc_lo
	v_cmp_eq_u32_e32 vcc_lo, s9, v9
	v_cndmask_b32_e64 v12, 0, -1, s2
	s_delay_alu instid0(VALU_DEP_1) | instskip(SKIP_1) | instid1(VALU_DEP_1)
	v_cndmask_b32_e32 v9, v12, v11, vcc_lo
	v_sub_co_u32 v11, vcc_lo, v8, s8
	v_subrev_co_ci_u32_e64 v3, null, 0, v3, vcc_lo
	v_cmp_eq_u32_e32 vcc_lo, s9, v7
	v_cndmask_b32_e32 v3, v13, v10, vcc_lo
	v_cmp_ne_u32_e32 vcc_lo, 0, v9
	v_cndmask_b32_e32 v7, v8, v11, vcc_lo
	s_delay_alu instid0(VALU_DEP_3) | instskip(NEXT) | instid1(VALU_DEP_2)
	v_cmp_ne_u32_e32 vcc_lo, 0, v3
                                        ; implicit-def: $vgpr10_vgpr11
	v_cndmask_b32_e32 v8, v5, v7, vcc_lo
.LBB19_28:
	s_and_not1_saveexec_b32 s2, s3
	s_cbranch_execz .LBB19_30
; %bb.29:
	v_cvt_f32_u32_e32 v3, s8
	s_sub_co_i32 s3, 0, s8
	s_delay_alu instid0(VALU_DEP_1) | instskip(SKIP_1) | instid1(TRANS32_DEP_1)
	v_rcp_iflag_f32_e32 v3, v3
	v_nop
	v_mul_f32_e32 v3, 0x4f7ffffe, v3
	s_delay_alu instid0(VALU_DEP_1) | instskip(NEXT) | instid1(VALU_DEP_1)
	v_cvt_u32_f32_e32 v3, v3
	v_mul_lo_u32 v5, s3, v3
	s_delay_alu instid0(VALU_DEP_1) | instskip(NEXT) | instid1(VALU_DEP_1)
	v_mul_hi_u32 v5, v3, v5
	v_add_nc_u32_e32 v3, v3, v5
	s_delay_alu instid0(VALU_DEP_1) | instskip(NEXT) | instid1(VALU_DEP_1)
	v_mul_hi_u32 v3, v10, v3
	v_mul_lo_u32 v3, v3, s8
	s_delay_alu instid0(VALU_DEP_1) | instskip(NEXT) | instid1(VALU_DEP_1)
	v_sub_nc_u32_e32 v3, v10, v3
	v_subrev_nc_u32_e32 v5, s8, v3
	v_cmp_le_u32_e32 vcc_lo, s8, v3
	s_delay_alu instid0(VALU_DEP_2) | instskip(NEXT) | instid1(VALU_DEP_1)
	v_cndmask_b32_e32 v3, v3, v5, vcc_lo
	v_subrev_nc_u32_e32 v5, s8, v3
	v_cmp_le_u32_e32 vcc_lo, s8, v3
	s_delay_alu instid0(VALU_DEP_2)
	v_cndmask_b32_e32 v8, v3, v5, vcc_lo
.LBB19_30:
	s_or_b32 exec_lo, exec_lo, s2
	v_mul_lo_u32 v3, v4, s20
	s_load_b96 s[0:2], s[0:1], 0x50
	v_add_nc_u32_e32 v5, 1, v6
	v_cvt_f32_i32_e32 v4, v6
	s_mul_u64 s[18:19], s[14:15], s[12:13]
	s_mov_b32 s3, 0
	s_mul_u64 s[20:21], s[18:19], s[10:11]
	s_delay_alu instid0(VALU_DEP_3) | instskip(SKIP_3) | instid1(VALU_DEP_4)
	v_dual_ashrrev_i32 v9, 31, v8 :: v_dual_sub_nc_u32 v3, v0, v3
	v_add_nc_u32_e32 v6, 1, v2
	v_cvt_f32_i32_e32 v5, v5
	v_cvt_f32_i32_e32 v2, v2
	v_add_nc_u32_e32 v7, 1, v3
	s_delay_alu instid0(VALU_DEP_4) | instskip(SKIP_1) | instid1(VALU_DEP_3)
	v_cvt_f32_i32_e32 v6, v6
	v_cvt_f32_i32_e32 v3, v3
	;; [unrolled: 1-line block ×3, first 2 shown]
	s_wait_kmcnt 0x0
	v_fma_f32 v5, s1, v5, -0.5
	v_fma_f32 v6, s0, v6, -0.5
	v_fma_f32 v4, s1, v4, -0.5
	v_fma_f32 v2, s0, v2, -0.5
	v_fma_f32 v7, s2, v7, -0.5
	v_fma_f32 v3, s2, v3, -0.5
	v_ceil_f32_e32 v5, v5
	v_ceil_f32_e32 v6, v6
	;; [unrolled: 1-line block ×6, first 2 shown]
	v_cvt_i32_f32_e32 v5, v5
	v_cvt_i32_f32_e32 v6, v6
	;; [unrolled: 1-line block ×6, first 2 shown]
	v_min_i32_e32 v15, s10, v6
	v_min_i32_e32 v16, s12, v5
	v_min_i32_e32 v17, s14, v7
	v_min_i32_e32 v14, s12, v4
	v_min_i32_e32 v18, s10, v2
	v_min_i32_e32 v19, s14, v3
	v_cmp_gt_i32_e64 s0, v15, v2
	v_cmp_gt_i32_e64 s1, v16, v4
	v_cmp_gt_i32_e64 s2, v17, v3
	s_mul_u64 s[10:11], s[16:17], s[8:9]
	s_mov_b64 s[12:13], 0
	s_branch .LBB19_33
.LBB19_31:                              ;   in Loop: Header=BB19_33 Depth=1
	s_or_b32 exec_lo, exec_lo, s17
.LBB19_32:                              ;   in Loop: Header=BB19_33 Depth=1
	s_delay_alu instid0(SALU_CYCLE_1)
	s_or_b32 exec_lo, exec_lo, s16
	s_add_nc_u64 s[12:13], s[12:13], 1
	v_add_nc_u64_e32 v[4:5], s[22:23], v[0:1]
	v_cmp_le_u64_e64 s16, s[6:7], s[12:13]
	v_add_nc_u64_e32 v[0:1], s[10:11], v[0:1]
	global_store_b8 v[4:5], v2, off
	s_and_b32 vcc_lo, exec_lo, s16
	s_cbranch_vccnz .LBB19_44
.LBB19_33:                              ; =>This Loop Header: Depth=1
                                        ;     Child Loop BB19_37 Depth 2
                                        ;       Child Loop BB19_40 Depth 3
                                        ;         Child Loop BB19_42 Depth 4
	s_wait_xcnt 0x0
	v_mov_b32_e32 v2, 0
	s_and_saveexec_b32 s16, s0
	s_cbranch_execz .LBB19_32
; %bb.34:                               ;   in Loop: Header=BB19_33 Depth=1
	v_mad_nc_u64_u32 v[2:3], s12, s8, v[8:9]
	s_mul_i32 s17, s13, s8
	s_mul_i32 s24, s12, s9
	v_mov_b32_e32 v20, v18
	s_delay_alu instid0(VALU_DEP_2) | instskip(NEXT) | instid1(VALU_DEP_3)
	v_mad_nc_u64_u32 v[4:5], s20, v2, s[4:5]
	v_add3_u32 v3, s24, s17, v3
	s_mov_b32 s17, 0
	s_delay_alu instid0(VALU_DEP_2) | instskip(NEXT) | instid1(VALU_DEP_1)
	v_mad_u32 v2, s21, v2, v5
	v_mad_u32 v5, s20, v3, v2
	v_mov_b64_e32 v[2:3], 0
	s_branch .LBB19_37
.LBB19_35:                              ;   in Loop: Header=BB19_37 Depth=2
	s_or_b32 exec_lo, exec_lo, s25
.LBB19_36:                              ;   in Loop: Header=BB19_37 Depth=2
	s_delay_alu instid0(SALU_CYCLE_1) | instskip(SKIP_1) | instid1(VALU_DEP_1)
	s_or_b32 exec_lo, exec_lo, s24
	v_add_nc_u32_e32 v20, 1, v20
	v_cmp_ge_i32_e32 vcc_lo, v20, v15
	s_or_b32 s17, vcc_lo, s17
	s_delay_alu instid0(SALU_CYCLE_1)
	s_and_not1_b32 exec_lo, exec_lo, s17
	s_cbranch_execz .LBB19_31
.LBB19_37:                              ;   Parent Loop BB19_33 Depth=1
                                        ; =>  This Loop Header: Depth=2
                                        ;       Child Loop BB19_40 Depth 3
                                        ;         Child Loop BB19_42 Depth 4
	s_and_saveexec_b32 s24, s1
	s_cbranch_execz .LBB19_36
; %bb.38:                               ;   in Loop: Header=BB19_37 Depth=2
	s_delay_alu instid0(VALU_DEP_2) | instskip(SKIP_2) | instid1(VALU_DEP_2)
	v_mad_nc_u64_u32 v[6:7], s18, v20, v[4:5]
	v_dual_mov_b32 v21, v14 :: v_dual_ashrrev_i32 v10, 31, v20
	s_mov_b32 s25, 0
	v_mad_u32 v7, s19, v20, v7
	s_delay_alu instid0(VALU_DEP_1)
	v_mad_u32 v7, s18, v10, v7
	s_branch .LBB19_40
.LBB19_39:                              ;   in Loop: Header=BB19_40 Depth=3
	s_or_b32 exec_lo, exec_lo, s26
	v_add_nc_u32_e32 v21, 1, v21
	s_delay_alu instid0(VALU_DEP_1) | instskip(SKIP_1) | instid1(SALU_CYCLE_1)
	v_cmp_ge_i32_e32 vcc_lo, v21, v16
	s_or_b32 s25, vcc_lo, s25
	s_and_not1_b32 exec_lo, exec_lo, s25
	s_cbranch_execz .LBB19_35
.LBB19_40:                              ;   Parent Loop BB19_33 Depth=1
                                        ;     Parent Loop BB19_37 Depth=2
                                        ; =>    This Loop Header: Depth=3
                                        ;         Child Loop BB19_42 Depth 4
	s_and_saveexec_b32 s26, s2
	s_cbranch_execz .LBB19_39
; %bb.41:                               ;   in Loop: Header=BB19_40 Depth=3
	s_delay_alu instid0(VALU_DEP_1) | instskip(SKIP_2) | instid1(VALU_DEP_2)
	v_mad_nc_u64_u32 v[10:11], s14, v21, v[6:7]
	v_ashrrev_i32_e32 v12, 31, v21
	s_mov_b32 s27, 0
	v_mad_u32 v11, s15, v21, v11
	s_delay_alu instid0(VALU_DEP_1)
	v_mad_u32 v11, s14, v12, v11
	v_mov_b32_e32 v12, v19
.LBB19_42:                              ;   Parent Loop BB19_33 Depth=1
                                        ;     Parent Loop BB19_37 Depth=2
                                        ;       Parent Loop BB19_40 Depth=3
                                        ; =>      This Inner Loop Header: Depth=4
	s_delay_alu instid0(VALU_DEP_1) | instskip(NEXT) | instid1(VALU_DEP_1)
	v_ashrrev_i32_e32 v13, 31, v12
	v_add_nc_u64_e32 v[22:23], v[10:11], v[12:13]
	v_add_nc_u32_e32 v12, 1, v12
	s_delay_alu instid0(VALU_DEP_1)
	v_cmp_ge_i32_e32 vcc_lo, v12, v17
	global_load_u8 v13, v[22:23], off
	s_wait_xcnt 0x0
	v_mov_b32_e32 v23, s3
	s_or_b32 s27, vcc_lo, s27
	s_wait_loadcnt 0x0
	v_and_b32_e32 v22, 0xffff, v13
	s_delay_alu instid0(VALU_DEP_1)
	v_add_nc_u64_e32 v[2:3], v[2:3], v[22:23]
	s_and_not1_b32 exec_lo, exec_lo, s27
	s_cbranch_execnz .LBB19_42
; %bb.43:                               ;   in Loop: Header=BB19_40 Depth=3
	s_or_b32 exec_lo, exec_lo, s27
	s_branch .LBB19_39
.LBB19_44:
	s_endpgm
	.section	.rodata,"a",@progbits
	.p2align	6, 0x0
	.amdhsa_kernel _ZN2at6native12_GLOBAL__N_137upsample_nearest3d_backward_out_frameIhlXadL_ZNS0_46nearest_neighbor_exact_bw_compute_source_indexEfiiEEEEvPKT_mmmmmmmmPS3_fff
		.amdhsa_group_segment_fixed_size 0
		.amdhsa_private_segment_fixed_size 0
		.amdhsa_kernarg_size 352
		.amdhsa_user_sgpr_count 2
		.amdhsa_user_sgpr_dispatch_ptr 0
		.amdhsa_user_sgpr_queue_ptr 0
		.amdhsa_user_sgpr_kernarg_segment_ptr 1
		.amdhsa_user_sgpr_dispatch_id 0
		.amdhsa_user_sgpr_kernarg_preload_length 0
		.amdhsa_user_sgpr_kernarg_preload_offset 0
		.amdhsa_user_sgpr_private_segment_size 0
		.amdhsa_wavefront_size32 1
		.amdhsa_uses_dynamic_stack 0
		.amdhsa_enable_private_segment 0
		.amdhsa_system_sgpr_workgroup_id_x 1
		.amdhsa_system_sgpr_workgroup_id_y 0
		.amdhsa_system_sgpr_workgroup_id_z 0
		.amdhsa_system_sgpr_workgroup_info 0
		.amdhsa_system_vgpr_workitem_id 0
		.amdhsa_next_free_vgpr 24
		.amdhsa_next_free_sgpr 39
		.amdhsa_named_barrier_count 0
		.amdhsa_reserve_vcc 1
		.amdhsa_float_round_mode_32 0
		.amdhsa_float_round_mode_16_64 0
		.amdhsa_float_denorm_mode_32 3
		.amdhsa_float_denorm_mode_16_64 3
		.amdhsa_fp16_overflow 0
		.amdhsa_memory_ordered 1
		.amdhsa_forward_progress 1
		.amdhsa_inst_pref_size 45
		.amdhsa_round_robin_scheduling 0
		.amdhsa_exception_fp_ieee_invalid_op 0
		.amdhsa_exception_fp_denorm_src 0
		.amdhsa_exception_fp_ieee_div_zero 0
		.amdhsa_exception_fp_ieee_overflow 0
		.amdhsa_exception_fp_ieee_underflow 0
		.amdhsa_exception_fp_ieee_inexact 0
		.amdhsa_exception_int_div_zero 0
	.end_amdhsa_kernel
	.section	.text._ZN2at6native12_GLOBAL__N_137upsample_nearest3d_backward_out_frameIhlXadL_ZNS0_46nearest_neighbor_exact_bw_compute_source_indexEfiiEEEEvPKT_mmmmmmmmPS3_fff,"axG",@progbits,_ZN2at6native12_GLOBAL__N_137upsample_nearest3d_backward_out_frameIhlXadL_ZNS0_46nearest_neighbor_exact_bw_compute_source_indexEfiiEEEEvPKT_mmmmmmmmPS3_fff,comdat
.Lfunc_end19:
	.size	_ZN2at6native12_GLOBAL__N_137upsample_nearest3d_backward_out_frameIhlXadL_ZNS0_46nearest_neighbor_exact_bw_compute_source_indexEfiiEEEEvPKT_mmmmmmmmPS3_fff, .Lfunc_end19-_ZN2at6native12_GLOBAL__N_137upsample_nearest3d_backward_out_frameIhlXadL_ZNS0_46nearest_neighbor_exact_bw_compute_source_indexEfiiEEEEvPKT_mmmmmmmmPS3_fff
                                        ; -- End function
	.set _ZN2at6native12_GLOBAL__N_137upsample_nearest3d_backward_out_frameIhlXadL_ZNS0_46nearest_neighbor_exact_bw_compute_source_indexEfiiEEEEvPKT_mmmmmmmmPS3_fff.num_vgpr, 24
	.set _ZN2at6native12_GLOBAL__N_137upsample_nearest3d_backward_out_frameIhlXadL_ZNS0_46nearest_neighbor_exact_bw_compute_source_indexEfiiEEEEvPKT_mmmmmmmmPS3_fff.num_agpr, 0
	.set _ZN2at6native12_GLOBAL__N_137upsample_nearest3d_backward_out_frameIhlXadL_ZNS0_46nearest_neighbor_exact_bw_compute_source_indexEfiiEEEEvPKT_mmmmmmmmPS3_fff.numbered_sgpr, 39
	.set _ZN2at6native12_GLOBAL__N_137upsample_nearest3d_backward_out_frameIhlXadL_ZNS0_46nearest_neighbor_exact_bw_compute_source_indexEfiiEEEEvPKT_mmmmmmmmPS3_fff.num_named_barrier, 0
	.set _ZN2at6native12_GLOBAL__N_137upsample_nearest3d_backward_out_frameIhlXadL_ZNS0_46nearest_neighbor_exact_bw_compute_source_indexEfiiEEEEvPKT_mmmmmmmmPS3_fff.private_seg_size, 0
	.set _ZN2at6native12_GLOBAL__N_137upsample_nearest3d_backward_out_frameIhlXadL_ZNS0_46nearest_neighbor_exact_bw_compute_source_indexEfiiEEEEvPKT_mmmmmmmmPS3_fff.uses_vcc, 1
	.set _ZN2at6native12_GLOBAL__N_137upsample_nearest3d_backward_out_frameIhlXadL_ZNS0_46nearest_neighbor_exact_bw_compute_source_indexEfiiEEEEvPKT_mmmmmmmmPS3_fff.uses_flat_scratch, 0
	.set _ZN2at6native12_GLOBAL__N_137upsample_nearest3d_backward_out_frameIhlXadL_ZNS0_46nearest_neighbor_exact_bw_compute_source_indexEfiiEEEEvPKT_mmmmmmmmPS3_fff.has_dyn_sized_stack, 0
	.set _ZN2at6native12_GLOBAL__N_137upsample_nearest3d_backward_out_frameIhlXadL_ZNS0_46nearest_neighbor_exact_bw_compute_source_indexEfiiEEEEvPKT_mmmmmmmmPS3_fff.has_recursion, 0
	.set _ZN2at6native12_GLOBAL__N_137upsample_nearest3d_backward_out_frameIhlXadL_ZNS0_46nearest_neighbor_exact_bw_compute_source_indexEfiiEEEEvPKT_mmmmmmmmPS3_fff.has_indirect_call, 0
	.section	.AMDGPU.csdata,"",@progbits
; Kernel info:
; codeLenInByte = 5748
; TotalNumSgprs: 41
; NumVgprs: 24
; ScratchSize: 0
; MemoryBound: 0
; FloatMode: 240
; IeeeMode: 1
; LDSByteSize: 0 bytes/workgroup (compile time only)
; SGPRBlocks: 0
; VGPRBlocks: 1
; NumSGPRsForWavesPerEU: 41
; NumVGPRsForWavesPerEU: 24
; NamedBarCnt: 0
; Occupancy: 16
; WaveLimiterHint : 0
; COMPUTE_PGM_RSRC2:SCRATCH_EN: 0
; COMPUTE_PGM_RSRC2:USER_SGPR: 2
; COMPUTE_PGM_RSRC2:TRAP_HANDLER: 0
; COMPUTE_PGM_RSRC2:TGID_X_EN: 1
; COMPUTE_PGM_RSRC2:TGID_Y_EN: 0
; COMPUTE_PGM_RSRC2:TGID_Z_EN: 0
; COMPUTE_PGM_RSRC2:TIDIG_COMP_CNT: 0
	.section	.AMDGPU.gpr_maximums,"",@progbits
	.set amdgpu.max_num_vgpr, 0
	.set amdgpu.max_num_agpr, 0
	.set amdgpu.max_num_sgpr, 0
	.section	.AMDGPU.csdata,"",@progbits
	.type	__hip_cuid_14337c070a6bb448,@object ; @__hip_cuid_14337c070a6bb448
	.section	.bss,"aw",@nobits
	.globl	__hip_cuid_14337c070a6bb448
__hip_cuid_14337c070a6bb448:
	.byte	0                               ; 0x0
	.size	__hip_cuid_14337c070a6bb448, 1

	.ident	"AMD clang version 22.0.0git (https://github.com/RadeonOpenCompute/llvm-project roc-7.2.4 26084 f58b06dce1f9c15707c5f808fd002e18c2accf7e)"
	.section	".note.GNU-stack","",@progbits
	.addrsig
	.addrsig_sym __hip_cuid_14337c070a6bb448
	.amdgpu_metadata
---
amdhsa.kernels:
  - .args:
      - .address_space:  global
        .offset:         0
        .size:           8
        .value_kind:     global_buffer
      - .offset:         8
        .size:           8
        .value_kind:     by_value
      - .offset:         16
        .size:           8
        .value_kind:     by_value
      - .offset:         24
        .size:           8
        .value_kind:     by_value
      - .offset:         32
        .size:           8
        .value_kind:     by_value
      - .offset:         40
        .size:           8
        .value_kind:     by_value
      - .offset:         48
        .size:           8
        .value_kind:     by_value
      - .offset:         56
        .size:           8
        .value_kind:     by_value
      - .offset:         64
        .size:           8
        .value_kind:     by_value
      - .address_space:  global
        .offset:         72
        .size:           8
        .value_kind:     global_buffer
      - .offset:         80
        .size:           4
        .value_kind:     by_value
      - .offset:         84
        .size:           4
        .value_kind:     by_value
      - .offset:         88
        .size:           4
        .value_kind:     by_value
      - .offset:         96
        .size:           4
        .value_kind:     hidden_block_count_x
      - .offset:         100
        .size:           4
        .value_kind:     hidden_block_count_y
      - .offset:         104
        .size:           4
        .value_kind:     hidden_block_count_z
      - .offset:         108
        .size:           2
        .value_kind:     hidden_group_size_x
      - .offset:         110
        .size:           2
        .value_kind:     hidden_group_size_y
      - .offset:         112
        .size:           2
        .value_kind:     hidden_group_size_z
      - .offset:         114
        .size:           2
        .value_kind:     hidden_remainder_x
      - .offset:         116
        .size:           2
        .value_kind:     hidden_remainder_y
      - .offset:         118
        .size:           2
        .value_kind:     hidden_remainder_z
      - .offset:         136
        .size:           8
        .value_kind:     hidden_global_offset_x
      - .offset:         144
        .size:           8
        .value_kind:     hidden_global_offset_y
      - .offset:         152
        .size:           8
        .value_kind:     hidden_global_offset_z
      - .offset:         160
        .size:           2
        .value_kind:     hidden_grid_dims
    .group_segment_fixed_size: 0
    .kernarg_segment_align: 8
    .kernarg_segment_size: 352
    .language:       OpenCL C
    .language_version:
      - 2
      - 0
    .max_flat_workgroup_size: 1024
    .name:           _ZN2at6native12_GLOBAL__N_128upsample_nearest3d_out_frameIdXadL_ZNS0_37nearest_neighbor_compute_source_indexEfiiEEEEvPKT_mmmmmmmmPS3_fff
    .private_segment_fixed_size: 0
    .sgpr_count:     45
    .sgpr_spill_count: 0
    .symbol:         _ZN2at6native12_GLOBAL__N_128upsample_nearest3d_out_frameIdXadL_ZNS0_37nearest_neighbor_compute_source_indexEfiiEEEEvPKT_mmmmmmmmPS3_fff.kd
    .uniform_work_group_size: 1
    .uses_dynamic_stack: false
    .vgpr_count:     18
    .vgpr_spill_count: 0
    .wavefront_size: 32
  - .args:
      - .address_space:  global
        .offset:         0
        .size:           8
        .value_kind:     global_buffer
      - .offset:         8
        .size:           8
        .value_kind:     by_value
      - .offset:         16
        .size:           8
        .value_kind:     by_value
      - .offset:         24
        .size:           8
        .value_kind:     by_value
      - .offset:         32
        .size:           8
        .value_kind:     by_value
      - .offset:         40
        .size:           8
        .value_kind:     by_value
      - .offset:         48
        .size:           8
        .value_kind:     by_value
      - .offset:         56
        .size:           8
        .value_kind:     by_value
      - .offset:         64
        .size:           8
        .value_kind:     by_value
      - .address_space:  global
        .offset:         72
        .size:           8
        .value_kind:     global_buffer
      - .offset:         80
        .size:           4
        .value_kind:     by_value
      - .offset:         84
        .size:           4
        .value_kind:     by_value
      - .offset:         88
        .size:           4
        .value_kind:     by_value
      - .offset:         96
        .size:           4
        .value_kind:     hidden_block_count_x
      - .offset:         100
        .size:           4
        .value_kind:     hidden_block_count_y
      - .offset:         104
        .size:           4
        .value_kind:     hidden_block_count_z
      - .offset:         108
        .size:           2
        .value_kind:     hidden_group_size_x
      - .offset:         110
        .size:           2
        .value_kind:     hidden_group_size_y
      - .offset:         112
        .size:           2
        .value_kind:     hidden_group_size_z
      - .offset:         114
        .size:           2
        .value_kind:     hidden_remainder_x
      - .offset:         116
        .size:           2
        .value_kind:     hidden_remainder_y
      - .offset:         118
        .size:           2
        .value_kind:     hidden_remainder_z
      - .offset:         136
        .size:           8
        .value_kind:     hidden_global_offset_x
      - .offset:         144
        .size:           8
        .value_kind:     hidden_global_offset_y
      - .offset:         152
        .size:           8
        .value_kind:     hidden_global_offset_z
      - .offset:         160
        .size:           2
        .value_kind:     hidden_grid_dims
    .group_segment_fixed_size: 0
    .kernarg_segment_align: 8
    .kernarg_segment_size: 352
    .language:       OpenCL C
    .language_version:
      - 2
      - 0
    .max_flat_workgroup_size: 1024
    .name:           _ZN2at6native12_GLOBAL__N_128upsample_nearest3d_out_frameIfXadL_ZNS0_37nearest_neighbor_compute_source_indexEfiiEEEEvPKT_mmmmmmmmPS3_fff
    .private_segment_fixed_size: 0
    .sgpr_count:     45
    .sgpr_spill_count: 0
    .symbol:         _ZN2at6native12_GLOBAL__N_128upsample_nearest3d_out_frameIfXadL_ZNS0_37nearest_neighbor_compute_source_indexEfiiEEEEvPKT_mmmmmmmmPS3_fff.kd
    .uniform_work_group_size: 1
    .uses_dynamic_stack: false
    .vgpr_count:     18
    .vgpr_spill_count: 0
    .wavefront_size: 32
  - .args:
      - .address_space:  global
        .offset:         0
        .size:           8
        .value_kind:     global_buffer
      - .offset:         8
        .size:           8
        .value_kind:     by_value
      - .offset:         16
        .size:           8
        .value_kind:     by_value
      - .offset:         24
        .size:           8
        .value_kind:     by_value
      - .offset:         32
        .size:           8
        .value_kind:     by_value
      - .offset:         40
        .size:           8
        .value_kind:     by_value
      - .offset:         48
        .size:           8
        .value_kind:     by_value
      - .offset:         56
        .size:           8
        .value_kind:     by_value
      - .offset:         64
        .size:           8
        .value_kind:     by_value
      - .address_space:  global
        .offset:         72
        .size:           8
        .value_kind:     global_buffer
      - .offset:         80
        .size:           4
        .value_kind:     by_value
      - .offset:         84
        .size:           4
        .value_kind:     by_value
      - .offset:         88
        .size:           4
        .value_kind:     by_value
      - .offset:         96
        .size:           4
        .value_kind:     hidden_block_count_x
      - .offset:         100
        .size:           4
        .value_kind:     hidden_block_count_y
      - .offset:         104
        .size:           4
        .value_kind:     hidden_block_count_z
      - .offset:         108
        .size:           2
        .value_kind:     hidden_group_size_x
      - .offset:         110
        .size:           2
        .value_kind:     hidden_group_size_y
      - .offset:         112
        .size:           2
        .value_kind:     hidden_group_size_z
      - .offset:         114
        .size:           2
        .value_kind:     hidden_remainder_x
      - .offset:         116
        .size:           2
        .value_kind:     hidden_remainder_y
      - .offset:         118
        .size:           2
        .value_kind:     hidden_remainder_z
      - .offset:         136
        .size:           8
        .value_kind:     hidden_global_offset_x
      - .offset:         144
        .size:           8
        .value_kind:     hidden_global_offset_y
      - .offset:         152
        .size:           8
        .value_kind:     hidden_global_offset_z
      - .offset:         160
        .size:           2
        .value_kind:     hidden_grid_dims
    .group_segment_fixed_size: 0
    .kernarg_segment_align: 8
    .kernarg_segment_size: 352
    .language:       OpenCL C
    .language_version:
      - 2
      - 0
    .max_flat_workgroup_size: 1024
    .name:           _ZN2at6native12_GLOBAL__N_128upsample_nearest3d_out_frameIN3c104HalfEXadL_ZNS0_37nearest_neighbor_compute_source_indexEfiiEEEEvPKT_mmmmmmmmPS5_fff
    .private_segment_fixed_size: 0
    .sgpr_count:     45
    .sgpr_spill_count: 0
    .symbol:         _ZN2at6native12_GLOBAL__N_128upsample_nearest3d_out_frameIN3c104HalfEXadL_ZNS0_37nearest_neighbor_compute_source_indexEfiiEEEEvPKT_mmmmmmmmPS5_fff.kd
    .uniform_work_group_size: 1
    .uses_dynamic_stack: false
    .vgpr_count:     18
    .vgpr_spill_count: 0
    .wavefront_size: 32
  - .args:
      - .address_space:  global
        .offset:         0
        .size:           8
        .value_kind:     global_buffer
      - .offset:         8
        .size:           8
        .value_kind:     by_value
      - .offset:         16
        .size:           8
        .value_kind:     by_value
      - .offset:         24
        .size:           8
        .value_kind:     by_value
      - .offset:         32
        .size:           8
        .value_kind:     by_value
      - .offset:         40
        .size:           8
        .value_kind:     by_value
      - .offset:         48
        .size:           8
        .value_kind:     by_value
      - .offset:         56
        .size:           8
        .value_kind:     by_value
      - .offset:         64
        .size:           8
        .value_kind:     by_value
      - .address_space:  global
        .offset:         72
        .size:           8
        .value_kind:     global_buffer
      - .offset:         80
        .size:           4
        .value_kind:     by_value
      - .offset:         84
        .size:           4
        .value_kind:     by_value
      - .offset:         88
        .size:           4
        .value_kind:     by_value
      - .offset:         96
        .size:           4
        .value_kind:     hidden_block_count_x
      - .offset:         100
        .size:           4
        .value_kind:     hidden_block_count_y
      - .offset:         104
        .size:           4
        .value_kind:     hidden_block_count_z
      - .offset:         108
        .size:           2
        .value_kind:     hidden_group_size_x
      - .offset:         110
        .size:           2
        .value_kind:     hidden_group_size_y
      - .offset:         112
        .size:           2
        .value_kind:     hidden_group_size_z
      - .offset:         114
        .size:           2
        .value_kind:     hidden_remainder_x
      - .offset:         116
        .size:           2
        .value_kind:     hidden_remainder_y
      - .offset:         118
        .size:           2
        .value_kind:     hidden_remainder_z
      - .offset:         136
        .size:           8
        .value_kind:     hidden_global_offset_x
      - .offset:         144
        .size:           8
        .value_kind:     hidden_global_offset_y
      - .offset:         152
        .size:           8
        .value_kind:     hidden_global_offset_z
      - .offset:         160
        .size:           2
        .value_kind:     hidden_grid_dims
    .group_segment_fixed_size: 0
    .kernarg_segment_align: 8
    .kernarg_segment_size: 352
    .language:       OpenCL C
    .language_version:
      - 2
      - 0
    .max_flat_workgroup_size: 1024
    .name:           _ZN2at6native12_GLOBAL__N_128upsample_nearest3d_out_frameIN3c108BFloat16EXadL_ZNS0_37nearest_neighbor_compute_source_indexEfiiEEEEvPKT_mmmmmmmmPS5_fff
    .private_segment_fixed_size: 0
    .sgpr_count:     45
    .sgpr_spill_count: 0
    .symbol:         _ZN2at6native12_GLOBAL__N_128upsample_nearest3d_out_frameIN3c108BFloat16EXadL_ZNS0_37nearest_neighbor_compute_source_indexEfiiEEEEvPKT_mmmmmmmmPS5_fff.kd
    .uniform_work_group_size: 1
    .uses_dynamic_stack: false
    .vgpr_count:     18
    .vgpr_spill_count: 0
    .wavefront_size: 32
  - .args:
      - .address_space:  global
        .offset:         0
        .size:           8
        .value_kind:     global_buffer
      - .offset:         8
        .size:           8
        .value_kind:     by_value
      - .offset:         16
        .size:           8
        .value_kind:     by_value
      - .offset:         24
        .size:           8
        .value_kind:     by_value
      - .offset:         32
        .size:           8
        .value_kind:     by_value
      - .offset:         40
        .size:           8
        .value_kind:     by_value
      - .offset:         48
        .size:           8
        .value_kind:     by_value
      - .offset:         56
        .size:           8
        .value_kind:     by_value
      - .offset:         64
        .size:           8
        .value_kind:     by_value
      - .address_space:  global
        .offset:         72
        .size:           8
        .value_kind:     global_buffer
      - .offset:         80
        .size:           4
        .value_kind:     by_value
      - .offset:         84
        .size:           4
        .value_kind:     by_value
      - .offset:         88
        .size:           4
        .value_kind:     by_value
      - .offset:         96
        .size:           4
        .value_kind:     hidden_block_count_x
      - .offset:         100
        .size:           4
        .value_kind:     hidden_block_count_y
      - .offset:         104
        .size:           4
        .value_kind:     hidden_block_count_z
      - .offset:         108
        .size:           2
        .value_kind:     hidden_group_size_x
      - .offset:         110
        .size:           2
        .value_kind:     hidden_group_size_y
      - .offset:         112
        .size:           2
        .value_kind:     hidden_group_size_z
      - .offset:         114
        .size:           2
        .value_kind:     hidden_remainder_x
      - .offset:         116
        .size:           2
        .value_kind:     hidden_remainder_y
      - .offset:         118
        .size:           2
        .value_kind:     hidden_remainder_z
      - .offset:         136
        .size:           8
        .value_kind:     hidden_global_offset_x
      - .offset:         144
        .size:           8
        .value_kind:     hidden_global_offset_y
      - .offset:         152
        .size:           8
        .value_kind:     hidden_global_offset_z
      - .offset:         160
        .size:           2
        .value_kind:     hidden_grid_dims
    .group_segment_fixed_size: 0
    .kernarg_segment_align: 8
    .kernarg_segment_size: 352
    .language:       OpenCL C
    .language_version:
      - 2
      - 0
    .max_flat_workgroup_size: 1024
    .name:           _ZN2at6native12_GLOBAL__N_128upsample_nearest3d_out_frameIhXadL_ZNS0_37nearest_neighbor_compute_source_indexEfiiEEEEvPKT_mmmmmmmmPS3_fff
    .private_segment_fixed_size: 0
    .sgpr_count:     47
    .sgpr_spill_count: 0
    .symbol:         _ZN2at6native12_GLOBAL__N_128upsample_nearest3d_out_frameIhXadL_ZNS0_37nearest_neighbor_compute_source_indexEfiiEEEEvPKT_mmmmmmmmPS3_fff.kd
    .uniform_work_group_size: 1
    .uses_dynamic_stack: false
    .vgpr_count:     18
    .vgpr_spill_count: 0
    .wavefront_size: 32
  - .args:
      - .address_space:  global
        .offset:         0
        .size:           8
        .value_kind:     global_buffer
      - .offset:         8
        .size:           8
        .value_kind:     by_value
      - .offset:         16
        .size:           8
        .value_kind:     by_value
      - .offset:         24
        .size:           8
        .value_kind:     by_value
      - .offset:         32
        .size:           8
        .value_kind:     by_value
      - .offset:         40
        .size:           8
        .value_kind:     by_value
      - .offset:         48
        .size:           8
        .value_kind:     by_value
      - .offset:         56
        .size:           8
        .value_kind:     by_value
      - .offset:         64
        .size:           8
        .value_kind:     by_value
      - .address_space:  global
        .offset:         72
        .size:           8
        .value_kind:     global_buffer
      - .offset:         80
        .size:           4
        .value_kind:     by_value
      - .offset:         84
        .size:           4
        .value_kind:     by_value
      - .offset:         88
        .size:           4
        .value_kind:     by_value
      - .offset:         96
        .size:           4
        .value_kind:     hidden_block_count_x
      - .offset:         100
        .size:           4
        .value_kind:     hidden_block_count_y
      - .offset:         104
        .size:           4
        .value_kind:     hidden_block_count_z
      - .offset:         108
        .size:           2
        .value_kind:     hidden_group_size_x
      - .offset:         110
        .size:           2
        .value_kind:     hidden_group_size_y
      - .offset:         112
        .size:           2
        .value_kind:     hidden_group_size_z
      - .offset:         114
        .size:           2
        .value_kind:     hidden_remainder_x
      - .offset:         116
        .size:           2
        .value_kind:     hidden_remainder_y
      - .offset:         118
        .size:           2
        .value_kind:     hidden_remainder_z
      - .offset:         136
        .size:           8
        .value_kind:     hidden_global_offset_x
      - .offset:         144
        .size:           8
        .value_kind:     hidden_global_offset_y
      - .offset:         152
        .size:           8
        .value_kind:     hidden_global_offset_z
      - .offset:         160
        .size:           2
        .value_kind:     hidden_grid_dims
    .group_segment_fixed_size: 0
    .kernarg_segment_align: 8
    .kernarg_segment_size: 352
    .language:       OpenCL C
    .language_version:
      - 2
      - 0
    .max_flat_workgroup_size: 1024
    .name:           _ZN2at6native12_GLOBAL__N_128upsample_nearest3d_out_frameIdXadL_ZNS0_43nearest_neighbor_exact_compute_source_indexEfiiEEEEvPKT_mmmmmmmmPS3_fff
    .private_segment_fixed_size: 0
    .sgpr_count:     45
    .sgpr_spill_count: 0
    .symbol:         _ZN2at6native12_GLOBAL__N_128upsample_nearest3d_out_frameIdXadL_ZNS0_43nearest_neighbor_exact_compute_source_indexEfiiEEEEvPKT_mmmmmmmmPS3_fff.kd
    .uniform_work_group_size: 1
    .uses_dynamic_stack: false
    .vgpr_count:     18
    .vgpr_spill_count: 0
    .wavefront_size: 32
  - .args:
      - .address_space:  global
        .offset:         0
        .size:           8
        .value_kind:     global_buffer
      - .offset:         8
        .size:           8
        .value_kind:     by_value
      - .offset:         16
        .size:           8
        .value_kind:     by_value
      - .offset:         24
        .size:           8
        .value_kind:     by_value
      - .offset:         32
        .size:           8
        .value_kind:     by_value
      - .offset:         40
        .size:           8
        .value_kind:     by_value
      - .offset:         48
        .size:           8
        .value_kind:     by_value
      - .offset:         56
        .size:           8
        .value_kind:     by_value
      - .offset:         64
        .size:           8
        .value_kind:     by_value
      - .address_space:  global
        .offset:         72
        .size:           8
        .value_kind:     global_buffer
      - .offset:         80
        .size:           4
        .value_kind:     by_value
      - .offset:         84
        .size:           4
        .value_kind:     by_value
      - .offset:         88
        .size:           4
        .value_kind:     by_value
      - .offset:         96
        .size:           4
        .value_kind:     hidden_block_count_x
      - .offset:         100
        .size:           4
        .value_kind:     hidden_block_count_y
      - .offset:         104
        .size:           4
        .value_kind:     hidden_block_count_z
      - .offset:         108
        .size:           2
        .value_kind:     hidden_group_size_x
      - .offset:         110
        .size:           2
        .value_kind:     hidden_group_size_y
      - .offset:         112
        .size:           2
        .value_kind:     hidden_group_size_z
      - .offset:         114
        .size:           2
        .value_kind:     hidden_remainder_x
      - .offset:         116
        .size:           2
        .value_kind:     hidden_remainder_y
      - .offset:         118
        .size:           2
        .value_kind:     hidden_remainder_z
      - .offset:         136
        .size:           8
        .value_kind:     hidden_global_offset_x
      - .offset:         144
        .size:           8
        .value_kind:     hidden_global_offset_y
      - .offset:         152
        .size:           8
        .value_kind:     hidden_global_offset_z
      - .offset:         160
        .size:           2
        .value_kind:     hidden_grid_dims
    .group_segment_fixed_size: 0
    .kernarg_segment_align: 8
    .kernarg_segment_size: 352
    .language:       OpenCL C
    .language_version:
      - 2
      - 0
    .max_flat_workgroup_size: 1024
    .name:           _ZN2at6native12_GLOBAL__N_128upsample_nearest3d_out_frameIfXadL_ZNS0_43nearest_neighbor_exact_compute_source_indexEfiiEEEEvPKT_mmmmmmmmPS3_fff
    .private_segment_fixed_size: 0
    .sgpr_count:     45
    .sgpr_spill_count: 0
    .symbol:         _ZN2at6native12_GLOBAL__N_128upsample_nearest3d_out_frameIfXadL_ZNS0_43nearest_neighbor_exact_compute_source_indexEfiiEEEEvPKT_mmmmmmmmPS3_fff.kd
    .uniform_work_group_size: 1
    .uses_dynamic_stack: false
    .vgpr_count:     18
    .vgpr_spill_count: 0
    .wavefront_size: 32
  - .args:
      - .address_space:  global
        .offset:         0
        .size:           8
        .value_kind:     global_buffer
      - .offset:         8
        .size:           8
        .value_kind:     by_value
      - .offset:         16
        .size:           8
        .value_kind:     by_value
      - .offset:         24
        .size:           8
        .value_kind:     by_value
      - .offset:         32
        .size:           8
        .value_kind:     by_value
      - .offset:         40
        .size:           8
        .value_kind:     by_value
      - .offset:         48
        .size:           8
        .value_kind:     by_value
      - .offset:         56
        .size:           8
        .value_kind:     by_value
      - .offset:         64
        .size:           8
        .value_kind:     by_value
      - .address_space:  global
        .offset:         72
        .size:           8
        .value_kind:     global_buffer
      - .offset:         80
        .size:           4
        .value_kind:     by_value
      - .offset:         84
        .size:           4
        .value_kind:     by_value
      - .offset:         88
        .size:           4
        .value_kind:     by_value
      - .offset:         96
        .size:           4
        .value_kind:     hidden_block_count_x
      - .offset:         100
        .size:           4
        .value_kind:     hidden_block_count_y
      - .offset:         104
        .size:           4
        .value_kind:     hidden_block_count_z
      - .offset:         108
        .size:           2
        .value_kind:     hidden_group_size_x
      - .offset:         110
        .size:           2
        .value_kind:     hidden_group_size_y
      - .offset:         112
        .size:           2
        .value_kind:     hidden_group_size_z
      - .offset:         114
        .size:           2
        .value_kind:     hidden_remainder_x
      - .offset:         116
        .size:           2
        .value_kind:     hidden_remainder_y
      - .offset:         118
        .size:           2
        .value_kind:     hidden_remainder_z
      - .offset:         136
        .size:           8
        .value_kind:     hidden_global_offset_x
      - .offset:         144
        .size:           8
        .value_kind:     hidden_global_offset_y
      - .offset:         152
        .size:           8
        .value_kind:     hidden_global_offset_z
      - .offset:         160
        .size:           2
        .value_kind:     hidden_grid_dims
    .group_segment_fixed_size: 0
    .kernarg_segment_align: 8
    .kernarg_segment_size: 352
    .language:       OpenCL C
    .language_version:
      - 2
      - 0
    .max_flat_workgroup_size: 1024
    .name:           _ZN2at6native12_GLOBAL__N_128upsample_nearest3d_out_frameIN3c104HalfEXadL_ZNS0_43nearest_neighbor_exact_compute_source_indexEfiiEEEEvPKT_mmmmmmmmPS5_fff
    .private_segment_fixed_size: 0
    .sgpr_count:     45
    .sgpr_spill_count: 0
    .symbol:         _ZN2at6native12_GLOBAL__N_128upsample_nearest3d_out_frameIN3c104HalfEXadL_ZNS0_43nearest_neighbor_exact_compute_source_indexEfiiEEEEvPKT_mmmmmmmmPS5_fff.kd
    .uniform_work_group_size: 1
    .uses_dynamic_stack: false
    .vgpr_count:     18
    .vgpr_spill_count: 0
    .wavefront_size: 32
  - .args:
      - .address_space:  global
        .offset:         0
        .size:           8
        .value_kind:     global_buffer
      - .offset:         8
        .size:           8
        .value_kind:     by_value
      - .offset:         16
        .size:           8
        .value_kind:     by_value
      - .offset:         24
        .size:           8
        .value_kind:     by_value
      - .offset:         32
        .size:           8
        .value_kind:     by_value
      - .offset:         40
        .size:           8
        .value_kind:     by_value
      - .offset:         48
        .size:           8
        .value_kind:     by_value
      - .offset:         56
        .size:           8
        .value_kind:     by_value
      - .offset:         64
        .size:           8
        .value_kind:     by_value
      - .address_space:  global
        .offset:         72
        .size:           8
        .value_kind:     global_buffer
      - .offset:         80
        .size:           4
        .value_kind:     by_value
      - .offset:         84
        .size:           4
        .value_kind:     by_value
      - .offset:         88
        .size:           4
        .value_kind:     by_value
      - .offset:         96
        .size:           4
        .value_kind:     hidden_block_count_x
      - .offset:         100
        .size:           4
        .value_kind:     hidden_block_count_y
      - .offset:         104
        .size:           4
        .value_kind:     hidden_block_count_z
      - .offset:         108
        .size:           2
        .value_kind:     hidden_group_size_x
      - .offset:         110
        .size:           2
        .value_kind:     hidden_group_size_y
      - .offset:         112
        .size:           2
        .value_kind:     hidden_group_size_z
      - .offset:         114
        .size:           2
        .value_kind:     hidden_remainder_x
      - .offset:         116
        .size:           2
        .value_kind:     hidden_remainder_y
      - .offset:         118
        .size:           2
        .value_kind:     hidden_remainder_z
      - .offset:         136
        .size:           8
        .value_kind:     hidden_global_offset_x
      - .offset:         144
        .size:           8
        .value_kind:     hidden_global_offset_y
      - .offset:         152
        .size:           8
        .value_kind:     hidden_global_offset_z
      - .offset:         160
        .size:           2
        .value_kind:     hidden_grid_dims
    .group_segment_fixed_size: 0
    .kernarg_segment_align: 8
    .kernarg_segment_size: 352
    .language:       OpenCL C
    .language_version:
      - 2
      - 0
    .max_flat_workgroup_size: 1024
    .name:           _ZN2at6native12_GLOBAL__N_128upsample_nearest3d_out_frameIN3c108BFloat16EXadL_ZNS0_43nearest_neighbor_exact_compute_source_indexEfiiEEEEvPKT_mmmmmmmmPS5_fff
    .private_segment_fixed_size: 0
    .sgpr_count:     45
    .sgpr_spill_count: 0
    .symbol:         _ZN2at6native12_GLOBAL__N_128upsample_nearest3d_out_frameIN3c108BFloat16EXadL_ZNS0_43nearest_neighbor_exact_compute_source_indexEfiiEEEEvPKT_mmmmmmmmPS5_fff.kd
    .uniform_work_group_size: 1
    .uses_dynamic_stack: false
    .vgpr_count:     18
    .vgpr_spill_count: 0
    .wavefront_size: 32
  - .args:
      - .address_space:  global
        .offset:         0
        .size:           8
        .value_kind:     global_buffer
      - .offset:         8
        .size:           8
        .value_kind:     by_value
      - .offset:         16
        .size:           8
        .value_kind:     by_value
      - .offset:         24
        .size:           8
        .value_kind:     by_value
      - .offset:         32
        .size:           8
        .value_kind:     by_value
      - .offset:         40
        .size:           8
        .value_kind:     by_value
      - .offset:         48
        .size:           8
        .value_kind:     by_value
      - .offset:         56
        .size:           8
        .value_kind:     by_value
      - .offset:         64
        .size:           8
        .value_kind:     by_value
      - .address_space:  global
        .offset:         72
        .size:           8
        .value_kind:     global_buffer
      - .offset:         80
        .size:           4
        .value_kind:     by_value
      - .offset:         84
        .size:           4
        .value_kind:     by_value
      - .offset:         88
        .size:           4
        .value_kind:     by_value
      - .offset:         96
        .size:           4
        .value_kind:     hidden_block_count_x
      - .offset:         100
        .size:           4
        .value_kind:     hidden_block_count_y
      - .offset:         104
        .size:           4
        .value_kind:     hidden_block_count_z
      - .offset:         108
        .size:           2
        .value_kind:     hidden_group_size_x
      - .offset:         110
        .size:           2
        .value_kind:     hidden_group_size_y
      - .offset:         112
        .size:           2
        .value_kind:     hidden_group_size_z
      - .offset:         114
        .size:           2
        .value_kind:     hidden_remainder_x
      - .offset:         116
        .size:           2
        .value_kind:     hidden_remainder_y
      - .offset:         118
        .size:           2
        .value_kind:     hidden_remainder_z
      - .offset:         136
        .size:           8
        .value_kind:     hidden_global_offset_x
      - .offset:         144
        .size:           8
        .value_kind:     hidden_global_offset_y
      - .offset:         152
        .size:           8
        .value_kind:     hidden_global_offset_z
      - .offset:         160
        .size:           2
        .value_kind:     hidden_grid_dims
    .group_segment_fixed_size: 0
    .kernarg_segment_align: 8
    .kernarg_segment_size: 352
    .language:       OpenCL C
    .language_version:
      - 2
      - 0
    .max_flat_workgroup_size: 1024
    .name:           _ZN2at6native12_GLOBAL__N_128upsample_nearest3d_out_frameIhXadL_ZNS0_43nearest_neighbor_exact_compute_source_indexEfiiEEEEvPKT_mmmmmmmmPS3_fff
    .private_segment_fixed_size: 0
    .sgpr_count:     47
    .sgpr_spill_count: 0
    .symbol:         _ZN2at6native12_GLOBAL__N_128upsample_nearest3d_out_frameIhXadL_ZNS0_43nearest_neighbor_exact_compute_source_indexEfiiEEEEvPKT_mmmmmmmmPS3_fff.kd
    .uniform_work_group_size: 1
    .uses_dynamic_stack: false
    .vgpr_count:     18
    .vgpr_spill_count: 0
    .wavefront_size: 32
  - .args:
      - .address_space:  global
        .offset:         0
        .size:           8
        .value_kind:     global_buffer
      - .offset:         8
        .size:           8
        .value_kind:     by_value
      - .offset:         16
        .size:           8
        .value_kind:     by_value
      - .offset:         24
        .size:           8
        .value_kind:     by_value
      - .offset:         32
        .size:           8
        .value_kind:     by_value
      - .offset:         40
        .size:           8
        .value_kind:     by_value
      - .offset:         48
        .size:           8
        .value_kind:     by_value
      - .offset:         56
        .size:           8
        .value_kind:     by_value
      - .offset:         64
        .size:           8
        .value_kind:     by_value
      - .address_space:  global
        .offset:         72
        .size:           8
        .value_kind:     global_buffer
      - .offset:         80
        .size:           4
        .value_kind:     by_value
      - .offset:         84
        .size:           4
        .value_kind:     by_value
      - .offset:         88
        .size:           4
        .value_kind:     by_value
      - .offset:         96
        .size:           4
        .value_kind:     hidden_block_count_x
      - .offset:         100
        .size:           4
        .value_kind:     hidden_block_count_y
      - .offset:         104
        .size:           4
        .value_kind:     hidden_block_count_z
      - .offset:         108
        .size:           2
        .value_kind:     hidden_group_size_x
      - .offset:         110
        .size:           2
        .value_kind:     hidden_group_size_y
      - .offset:         112
        .size:           2
        .value_kind:     hidden_group_size_z
      - .offset:         114
        .size:           2
        .value_kind:     hidden_remainder_x
      - .offset:         116
        .size:           2
        .value_kind:     hidden_remainder_y
      - .offset:         118
        .size:           2
        .value_kind:     hidden_remainder_z
      - .offset:         136
        .size:           8
        .value_kind:     hidden_global_offset_x
      - .offset:         144
        .size:           8
        .value_kind:     hidden_global_offset_y
      - .offset:         152
        .size:           8
        .value_kind:     hidden_global_offset_z
      - .offset:         160
        .size:           2
        .value_kind:     hidden_grid_dims
    .group_segment_fixed_size: 0
    .kernarg_segment_align: 8
    .kernarg_segment_size: 352
    .language:       OpenCL C
    .language_version:
      - 2
      - 0
    .max_flat_workgroup_size: 1024
    .name:           _ZN2at6native12_GLOBAL__N_137upsample_nearest3d_backward_out_frameIddXadL_ZNS0_40nearest_neighbor_bw_compute_source_indexEfiiEEEEvPKT_mmmmmmmmPS3_fff
    .private_segment_fixed_size: 0
    .sgpr_count:     41
    .sgpr_spill_count: 0
    .symbol:         _ZN2at6native12_GLOBAL__N_137upsample_nearest3d_backward_out_frameIddXadL_ZNS0_40nearest_neighbor_bw_compute_source_indexEfiiEEEEvPKT_mmmmmmmmPS3_fff.kd
    .uniform_work_group_size: 1
    .uses_dynamic_stack: false
    .vgpr_count:     26
    .vgpr_spill_count: 0
    .wavefront_size: 32
  - .args:
      - .address_space:  global
        .offset:         0
        .size:           8
        .value_kind:     global_buffer
      - .offset:         8
        .size:           8
        .value_kind:     by_value
      - .offset:         16
        .size:           8
        .value_kind:     by_value
      - .offset:         24
        .size:           8
        .value_kind:     by_value
      - .offset:         32
        .size:           8
        .value_kind:     by_value
      - .offset:         40
        .size:           8
        .value_kind:     by_value
      - .offset:         48
        .size:           8
        .value_kind:     by_value
      - .offset:         56
        .size:           8
        .value_kind:     by_value
      - .offset:         64
        .size:           8
        .value_kind:     by_value
      - .address_space:  global
        .offset:         72
        .size:           8
        .value_kind:     global_buffer
      - .offset:         80
        .size:           4
        .value_kind:     by_value
      - .offset:         84
        .size:           4
        .value_kind:     by_value
      - .offset:         88
        .size:           4
        .value_kind:     by_value
      - .offset:         96
        .size:           4
        .value_kind:     hidden_block_count_x
      - .offset:         100
        .size:           4
        .value_kind:     hidden_block_count_y
      - .offset:         104
        .size:           4
        .value_kind:     hidden_block_count_z
      - .offset:         108
        .size:           2
        .value_kind:     hidden_group_size_x
      - .offset:         110
        .size:           2
        .value_kind:     hidden_group_size_y
      - .offset:         112
        .size:           2
        .value_kind:     hidden_group_size_z
      - .offset:         114
        .size:           2
        .value_kind:     hidden_remainder_x
      - .offset:         116
        .size:           2
        .value_kind:     hidden_remainder_y
      - .offset:         118
        .size:           2
        .value_kind:     hidden_remainder_z
      - .offset:         136
        .size:           8
        .value_kind:     hidden_global_offset_x
      - .offset:         144
        .size:           8
        .value_kind:     hidden_global_offset_y
      - .offset:         152
        .size:           8
        .value_kind:     hidden_global_offset_z
      - .offset:         160
        .size:           2
        .value_kind:     hidden_grid_dims
    .group_segment_fixed_size: 0
    .kernarg_segment_align: 8
    .kernarg_segment_size: 352
    .language:       OpenCL C
    .language_version:
      - 2
      - 0
    .max_flat_workgroup_size: 1024
    .name:           _ZN2at6native12_GLOBAL__N_137upsample_nearest3d_backward_out_frameIffXadL_ZNS0_40nearest_neighbor_bw_compute_source_indexEfiiEEEEvPKT_mmmmmmmmPS3_fff
    .private_segment_fixed_size: 0
    .sgpr_count:     41
    .sgpr_spill_count: 0
    .symbol:         _ZN2at6native12_GLOBAL__N_137upsample_nearest3d_backward_out_frameIffXadL_ZNS0_40nearest_neighbor_bw_compute_source_indexEfiiEEEEvPKT_mmmmmmmmPS3_fff.kd
    .uniform_work_group_size: 1
    .uses_dynamic_stack: false
    .vgpr_count:     26
    .vgpr_spill_count: 0
    .wavefront_size: 32
  - .args:
      - .address_space:  global
        .offset:         0
        .size:           8
        .value_kind:     global_buffer
      - .offset:         8
        .size:           8
        .value_kind:     by_value
      - .offset:         16
        .size:           8
        .value_kind:     by_value
      - .offset:         24
        .size:           8
        .value_kind:     by_value
      - .offset:         32
        .size:           8
        .value_kind:     by_value
      - .offset:         40
        .size:           8
        .value_kind:     by_value
      - .offset:         48
        .size:           8
        .value_kind:     by_value
      - .offset:         56
        .size:           8
        .value_kind:     by_value
      - .offset:         64
        .size:           8
        .value_kind:     by_value
      - .address_space:  global
        .offset:         72
        .size:           8
        .value_kind:     global_buffer
      - .offset:         80
        .size:           4
        .value_kind:     by_value
      - .offset:         84
        .size:           4
        .value_kind:     by_value
      - .offset:         88
        .size:           4
        .value_kind:     by_value
      - .offset:         96
        .size:           4
        .value_kind:     hidden_block_count_x
      - .offset:         100
        .size:           4
        .value_kind:     hidden_block_count_y
      - .offset:         104
        .size:           4
        .value_kind:     hidden_block_count_z
      - .offset:         108
        .size:           2
        .value_kind:     hidden_group_size_x
      - .offset:         110
        .size:           2
        .value_kind:     hidden_group_size_y
      - .offset:         112
        .size:           2
        .value_kind:     hidden_group_size_z
      - .offset:         114
        .size:           2
        .value_kind:     hidden_remainder_x
      - .offset:         116
        .size:           2
        .value_kind:     hidden_remainder_y
      - .offset:         118
        .size:           2
        .value_kind:     hidden_remainder_z
      - .offset:         136
        .size:           8
        .value_kind:     hidden_global_offset_x
      - .offset:         144
        .size:           8
        .value_kind:     hidden_global_offset_y
      - .offset:         152
        .size:           8
        .value_kind:     hidden_global_offset_z
      - .offset:         160
        .size:           2
        .value_kind:     hidden_grid_dims
    .group_segment_fixed_size: 0
    .kernarg_segment_align: 8
    .kernarg_segment_size: 352
    .language:       OpenCL C
    .language_version:
      - 2
      - 0
    .max_flat_workgroup_size: 1024
    .name:           _ZN2at6native12_GLOBAL__N_137upsample_nearest3d_backward_out_frameIN3c104HalfEfXadL_ZNS0_40nearest_neighbor_bw_compute_source_indexEfiiEEEEvPKT_mmmmmmmmPS5_fff
    .private_segment_fixed_size: 0
    .sgpr_count:     41
    .sgpr_spill_count: 0
    .symbol:         _ZN2at6native12_GLOBAL__N_137upsample_nearest3d_backward_out_frameIN3c104HalfEfXadL_ZNS0_40nearest_neighbor_bw_compute_source_indexEfiiEEEEvPKT_mmmmmmmmPS5_fff.kd
    .uniform_work_group_size: 1
    .uses_dynamic_stack: false
    .vgpr_count:     26
    .vgpr_spill_count: 0
    .wavefront_size: 32
  - .args:
      - .address_space:  global
        .offset:         0
        .size:           8
        .value_kind:     global_buffer
      - .offset:         8
        .size:           8
        .value_kind:     by_value
      - .offset:         16
        .size:           8
        .value_kind:     by_value
      - .offset:         24
        .size:           8
        .value_kind:     by_value
      - .offset:         32
        .size:           8
        .value_kind:     by_value
      - .offset:         40
        .size:           8
        .value_kind:     by_value
      - .offset:         48
        .size:           8
        .value_kind:     by_value
      - .offset:         56
        .size:           8
        .value_kind:     by_value
      - .offset:         64
        .size:           8
        .value_kind:     by_value
      - .address_space:  global
        .offset:         72
        .size:           8
        .value_kind:     global_buffer
      - .offset:         80
        .size:           4
        .value_kind:     by_value
      - .offset:         84
        .size:           4
        .value_kind:     by_value
      - .offset:         88
        .size:           4
        .value_kind:     by_value
      - .offset:         96
        .size:           4
        .value_kind:     hidden_block_count_x
      - .offset:         100
        .size:           4
        .value_kind:     hidden_block_count_y
      - .offset:         104
        .size:           4
        .value_kind:     hidden_block_count_z
      - .offset:         108
        .size:           2
        .value_kind:     hidden_group_size_x
      - .offset:         110
        .size:           2
        .value_kind:     hidden_group_size_y
      - .offset:         112
        .size:           2
        .value_kind:     hidden_group_size_z
      - .offset:         114
        .size:           2
        .value_kind:     hidden_remainder_x
      - .offset:         116
        .size:           2
        .value_kind:     hidden_remainder_y
      - .offset:         118
        .size:           2
        .value_kind:     hidden_remainder_z
      - .offset:         136
        .size:           8
        .value_kind:     hidden_global_offset_x
      - .offset:         144
        .size:           8
        .value_kind:     hidden_global_offset_y
      - .offset:         152
        .size:           8
        .value_kind:     hidden_global_offset_z
      - .offset:         160
        .size:           2
        .value_kind:     hidden_grid_dims
    .group_segment_fixed_size: 0
    .kernarg_segment_align: 8
    .kernarg_segment_size: 352
    .language:       OpenCL C
    .language_version:
      - 2
      - 0
    .max_flat_workgroup_size: 1024
    .name:           _ZN2at6native12_GLOBAL__N_137upsample_nearest3d_backward_out_frameIN3c108BFloat16EfXadL_ZNS0_40nearest_neighbor_bw_compute_source_indexEfiiEEEEvPKT_mmmmmmmmPS5_fff
    .private_segment_fixed_size: 0
    .sgpr_count:     41
    .sgpr_spill_count: 0
    .symbol:         _ZN2at6native12_GLOBAL__N_137upsample_nearest3d_backward_out_frameIN3c108BFloat16EfXadL_ZNS0_40nearest_neighbor_bw_compute_source_indexEfiiEEEEvPKT_mmmmmmmmPS5_fff.kd
    .uniform_work_group_size: 1
    .uses_dynamic_stack: false
    .vgpr_count:     26
    .vgpr_spill_count: 0
    .wavefront_size: 32
  - .args:
      - .address_space:  global
        .offset:         0
        .size:           8
        .value_kind:     global_buffer
      - .offset:         8
        .size:           8
        .value_kind:     by_value
      - .offset:         16
        .size:           8
        .value_kind:     by_value
      - .offset:         24
        .size:           8
        .value_kind:     by_value
      - .offset:         32
        .size:           8
        .value_kind:     by_value
      - .offset:         40
        .size:           8
        .value_kind:     by_value
      - .offset:         48
        .size:           8
        .value_kind:     by_value
      - .offset:         56
        .size:           8
        .value_kind:     by_value
      - .offset:         64
        .size:           8
        .value_kind:     by_value
      - .address_space:  global
        .offset:         72
        .size:           8
        .value_kind:     global_buffer
      - .offset:         80
        .size:           4
        .value_kind:     by_value
      - .offset:         84
        .size:           4
        .value_kind:     by_value
      - .offset:         88
        .size:           4
        .value_kind:     by_value
      - .offset:         96
        .size:           4
        .value_kind:     hidden_block_count_x
      - .offset:         100
        .size:           4
        .value_kind:     hidden_block_count_y
      - .offset:         104
        .size:           4
        .value_kind:     hidden_block_count_z
      - .offset:         108
        .size:           2
        .value_kind:     hidden_group_size_x
      - .offset:         110
        .size:           2
        .value_kind:     hidden_group_size_y
      - .offset:         112
        .size:           2
        .value_kind:     hidden_group_size_z
      - .offset:         114
        .size:           2
        .value_kind:     hidden_remainder_x
      - .offset:         116
        .size:           2
        .value_kind:     hidden_remainder_y
      - .offset:         118
        .size:           2
        .value_kind:     hidden_remainder_z
      - .offset:         136
        .size:           8
        .value_kind:     hidden_global_offset_x
      - .offset:         144
        .size:           8
        .value_kind:     hidden_global_offset_y
      - .offset:         152
        .size:           8
        .value_kind:     hidden_global_offset_z
      - .offset:         160
        .size:           2
        .value_kind:     hidden_grid_dims
    .group_segment_fixed_size: 0
    .kernarg_segment_align: 8
    .kernarg_segment_size: 352
    .language:       OpenCL C
    .language_version:
      - 2
      - 0
    .max_flat_workgroup_size: 1024
    .name:           _ZN2at6native12_GLOBAL__N_137upsample_nearest3d_backward_out_frameIhlXadL_ZNS0_40nearest_neighbor_bw_compute_source_indexEfiiEEEEvPKT_mmmmmmmmPS3_fff
    .private_segment_fixed_size: 0
    .sgpr_count:     41
    .sgpr_spill_count: 0
    .symbol:         _ZN2at6native12_GLOBAL__N_137upsample_nearest3d_backward_out_frameIhlXadL_ZNS0_40nearest_neighbor_bw_compute_source_indexEfiiEEEEvPKT_mmmmmmmmPS3_fff.kd
    .uniform_work_group_size: 1
    .uses_dynamic_stack: false
    .vgpr_count:     24
    .vgpr_spill_count: 0
    .wavefront_size: 32
  - .args:
      - .address_space:  global
        .offset:         0
        .size:           8
        .value_kind:     global_buffer
      - .offset:         8
        .size:           8
        .value_kind:     by_value
      - .offset:         16
        .size:           8
        .value_kind:     by_value
      - .offset:         24
        .size:           8
        .value_kind:     by_value
      - .offset:         32
        .size:           8
        .value_kind:     by_value
      - .offset:         40
        .size:           8
        .value_kind:     by_value
      - .offset:         48
        .size:           8
        .value_kind:     by_value
      - .offset:         56
        .size:           8
        .value_kind:     by_value
      - .offset:         64
        .size:           8
        .value_kind:     by_value
      - .address_space:  global
        .offset:         72
        .size:           8
        .value_kind:     global_buffer
      - .offset:         80
        .size:           4
        .value_kind:     by_value
      - .offset:         84
        .size:           4
        .value_kind:     by_value
      - .offset:         88
        .size:           4
        .value_kind:     by_value
      - .offset:         96
        .size:           4
        .value_kind:     hidden_block_count_x
      - .offset:         100
        .size:           4
        .value_kind:     hidden_block_count_y
      - .offset:         104
        .size:           4
        .value_kind:     hidden_block_count_z
      - .offset:         108
        .size:           2
        .value_kind:     hidden_group_size_x
      - .offset:         110
        .size:           2
        .value_kind:     hidden_group_size_y
      - .offset:         112
        .size:           2
        .value_kind:     hidden_group_size_z
      - .offset:         114
        .size:           2
        .value_kind:     hidden_remainder_x
      - .offset:         116
        .size:           2
        .value_kind:     hidden_remainder_y
      - .offset:         118
        .size:           2
        .value_kind:     hidden_remainder_z
      - .offset:         136
        .size:           8
        .value_kind:     hidden_global_offset_x
      - .offset:         144
        .size:           8
        .value_kind:     hidden_global_offset_y
      - .offset:         152
        .size:           8
        .value_kind:     hidden_global_offset_z
      - .offset:         160
        .size:           2
        .value_kind:     hidden_grid_dims
    .group_segment_fixed_size: 0
    .kernarg_segment_align: 8
    .kernarg_segment_size: 352
    .language:       OpenCL C
    .language_version:
      - 2
      - 0
    .max_flat_workgroup_size: 1024
    .name:           _ZN2at6native12_GLOBAL__N_137upsample_nearest3d_backward_out_frameIddXadL_ZNS0_46nearest_neighbor_exact_bw_compute_source_indexEfiiEEEEvPKT_mmmmmmmmPS3_fff
    .private_segment_fixed_size: 0
    .sgpr_count:     41
    .sgpr_spill_count: 0
    .symbol:         _ZN2at6native12_GLOBAL__N_137upsample_nearest3d_backward_out_frameIddXadL_ZNS0_46nearest_neighbor_exact_bw_compute_source_indexEfiiEEEEvPKT_mmmmmmmmPS3_fff.kd
    .uniform_work_group_size: 1
    .uses_dynamic_stack: false
    .vgpr_count:     26
    .vgpr_spill_count: 0
    .wavefront_size: 32
  - .args:
      - .address_space:  global
        .offset:         0
        .size:           8
        .value_kind:     global_buffer
      - .offset:         8
        .size:           8
        .value_kind:     by_value
      - .offset:         16
        .size:           8
        .value_kind:     by_value
      - .offset:         24
        .size:           8
        .value_kind:     by_value
      - .offset:         32
        .size:           8
        .value_kind:     by_value
      - .offset:         40
        .size:           8
        .value_kind:     by_value
      - .offset:         48
        .size:           8
        .value_kind:     by_value
      - .offset:         56
        .size:           8
        .value_kind:     by_value
      - .offset:         64
        .size:           8
        .value_kind:     by_value
      - .address_space:  global
        .offset:         72
        .size:           8
        .value_kind:     global_buffer
      - .offset:         80
        .size:           4
        .value_kind:     by_value
      - .offset:         84
        .size:           4
        .value_kind:     by_value
      - .offset:         88
        .size:           4
        .value_kind:     by_value
      - .offset:         96
        .size:           4
        .value_kind:     hidden_block_count_x
      - .offset:         100
        .size:           4
        .value_kind:     hidden_block_count_y
      - .offset:         104
        .size:           4
        .value_kind:     hidden_block_count_z
      - .offset:         108
        .size:           2
        .value_kind:     hidden_group_size_x
      - .offset:         110
        .size:           2
        .value_kind:     hidden_group_size_y
      - .offset:         112
        .size:           2
        .value_kind:     hidden_group_size_z
      - .offset:         114
        .size:           2
        .value_kind:     hidden_remainder_x
      - .offset:         116
        .size:           2
        .value_kind:     hidden_remainder_y
      - .offset:         118
        .size:           2
        .value_kind:     hidden_remainder_z
      - .offset:         136
        .size:           8
        .value_kind:     hidden_global_offset_x
      - .offset:         144
        .size:           8
        .value_kind:     hidden_global_offset_y
      - .offset:         152
        .size:           8
        .value_kind:     hidden_global_offset_z
      - .offset:         160
        .size:           2
        .value_kind:     hidden_grid_dims
    .group_segment_fixed_size: 0
    .kernarg_segment_align: 8
    .kernarg_segment_size: 352
    .language:       OpenCL C
    .language_version:
      - 2
      - 0
    .max_flat_workgroup_size: 1024
    .name:           _ZN2at6native12_GLOBAL__N_137upsample_nearest3d_backward_out_frameIffXadL_ZNS0_46nearest_neighbor_exact_bw_compute_source_indexEfiiEEEEvPKT_mmmmmmmmPS3_fff
    .private_segment_fixed_size: 0
    .sgpr_count:     41
    .sgpr_spill_count: 0
    .symbol:         _ZN2at6native12_GLOBAL__N_137upsample_nearest3d_backward_out_frameIffXadL_ZNS0_46nearest_neighbor_exact_bw_compute_source_indexEfiiEEEEvPKT_mmmmmmmmPS3_fff.kd
    .uniform_work_group_size: 1
    .uses_dynamic_stack: false
    .vgpr_count:     26
    .vgpr_spill_count: 0
    .wavefront_size: 32
  - .args:
      - .address_space:  global
        .offset:         0
        .size:           8
        .value_kind:     global_buffer
      - .offset:         8
        .size:           8
        .value_kind:     by_value
      - .offset:         16
        .size:           8
        .value_kind:     by_value
      - .offset:         24
        .size:           8
        .value_kind:     by_value
      - .offset:         32
        .size:           8
        .value_kind:     by_value
      - .offset:         40
        .size:           8
        .value_kind:     by_value
      - .offset:         48
        .size:           8
        .value_kind:     by_value
      - .offset:         56
        .size:           8
        .value_kind:     by_value
      - .offset:         64
        .size:           8
        .value_kind:     by_value
      - .address_space:  global
        .offset:         72
        .size:           8
        .value_kind:     global_buffer
      - .offset:         80
        .size:           4
        .value_kind:     by_value
      - .offset:         84
        .size:           4
        .value_kind:     by_value
      - .offset:         88
        .size:           4
        .value_kind:     by_value
      - .offset:         96
        .size:           4
        .value_kind:     hidden_block_count_x
      - .offset:         100
        .size:           4
        .value_kind:     hidden_block_count_y
      - .offset:         104
        .size:           4
        .value_kind:     hidden_block_count_z
      - .offset:         108
        .size:           2
        .value_kind:     hidden_group_size_x
      - .offset:         110
        .size:           2
        .value_kind:     hidden_group_size_y
      - .offset:         112
        .size:           2
        .value_kind:     hidden_group_size_z
      - .offset:         114
        .size:           2
        .value_kind:     hidden_remainder_x
      - .offset:         116
        .size:           2
        .value_kind:     hidden_remainder_y
      - .offset:         118
        .size:           2
        .value_kind:     hidden_remainder_z
      - .offset:         136
        .size:           8
        .value_kind:     hidden_global_offset_x
      - .offset:         144
        .size:           8
        .value_kind:     hidden_global_offset_y
      - .offset:         152
        .size:           8
        .value_kind:     hidden_global_offset_z
      - .offset:         160
        .size:           2
        .value_kind:     hidden_grid_dims
    .group_segment_fixed_size: 0
    .kernarg_segment_align: 8
    .kernarg_segment_size: 352
    .language:       OpenCL C
    .language_version:
      - 2
      - 0
    .max_flat_workgroup_size: 1024
    .name:           _ZN2at6native12_GLOBAL__N_137upsample_nearest3d_backward_out_frameIN3c104HalfEfXadL_ZNS0_46nearest_neighbor_exact_bw_compute_source_indexEfiiEEEEvPKT_mmmmmmmmPS5_fff
    .private_segment_fixed_size: 0
    .sgpr_count:     41
    .sgpr_spill_count: 0
    .symbol:         _ZN2at6native12_GLOBAL__N_137upsample_nearest3d_backward_out_frameIN3c104HalfEfXadL_ZNS0_46nearest_neighbor_exact_bw_compute_source_indexEfiiEEEEvPKT_mmmmmmmmPS5_fff.kd
    .uniform_work_group_size: 1
    .uses_dynamic_stack: false
    .vgpr_count:     26
    .vgpr_spill_count: 0
    .wavefront_size: 32
  - .args:
      - .address_space:  global
        .offset:         0
        .size:           8
        .value_kind:     global_buffer
      - .offset:         8
        .size:           8
        .value_kind:     by_value
      - .offset:         16
        .size:           8
        .value_kind:     by_value
      - .offset:         24
        .size:           8
        .value_kind:     by_value
      - .offset:         32
        .size:           8
        .value_kind:     by_value
      - .offset:         40
        .size:           8
        .value_kind:     by_value
      - .offset:         48
        .size:           8
        .value_kind:     by_value
      - .offset:         56
        .size:           8
        .value_kind:     by_value
      - .offset:         64
        .size:           8
        .value_kind:     by_value
      - .address_space:  global
        .offset:         72
        .size:           8
        .value_kind:     global_buffer
      - .offset:         80
        .size:           4
        .value_kind:     by_value
      - .offset:         84
        .size:           4
        .value_kind:     by_value
      - .offset:         88
        .size:           4
        .value_kind:     by_value
      - .offset:         96
        .size:           4
        .value_kind:     hidden_block_count_x
      - .offset:         100
        .size:           4
        .value_kind:     hidden_block_count_y
      - .offset:         104
        .size:           4
        .value_kind:     hidden_block_count_z
      - .offset:         108
        .size:           2
        .value_kind:     hidden_group_size_x
      - .offset:         110
        .size:           2
        .value_kind:     hidden_group_size_y
      - .offset:         112
        .size:           2
        .value_kind:     hidden_group_size_z
      - .offset:         114
        .size:           2
        .value_kind:     hidden_remainder_x
      - .offset:         116
        .size:           2
        .value_kind:     hidden_remainder_y
      - .offset:         118
        .size:           2
        .value_kind:     hidden_remainder_z
      - .offset:         136
        .size:           8
        .value_kind:     hidden_global_offset_x
      - .offset:         144
        .size:           8
        .value_kind:     hidden_global_offset_y
      - .offset:         152
        .size:           8
        .value_kind:     hidden_global_offset_z
      - .offset:         160
        .size:           2
        .value_kind:     hidden_grid_dims
    .group_segment_fixed_size: 0
    .kernarg_segment_align: 8
    .kernarg_segment_size: 352
    .language:       OpenCL C
    .language_version:
      - 2
      - 0
    .max_flat_workgroup_size: 1024
    .name:           _ZN2at6native12_GLOBAL__N_137upsample_nearest3d_backward_out_frameIN3c108BFloat16EfXadL_ZNS0_46nearest_neighbor_exact_bw_compute_source_indexEfiiEEEEvPKT_mmmmmmmmPS5_fff
    .private_segment_fixed_size: 0
    .sgpr_count:     41
    .sgpr_spill_count: 0
    .symbol:         _ZN2at6native12_GLOBAL__N_137upsample_nearest3d_backward_out_frameIN3c108BFloat16EfXadL_ZNS0_46nearest_neighbor_exact_bw_compute_source_indexEfiiEEEEvPKT_mmmmmmmmPS5_fff.kd
    .uniform_work_group_size: 1
    .uses_dynamic_stack: false
    .vgpr_count:     26
    .vgpr_spill_count: 0
    .wavefront_size: 32
  - .args:
      - .address_space:  global
        .offset:         0
        .size:           8
        .value_kind:     global_buffer
      - .offset:         8
        .size:           8
        .value_kind:     by_value
      - .offset:         16
        .size:           8
        .value_kind:     by_value
      - .offset:         24
        .size:           8
        .value_kind:     by_value
      - .offset:         32
        .size:           8
        .value_kind:     by_value
      - .offset:         40
        .size:           8
        .value_kind:     by_value
      - .offset:         48
        .size:           8
        .value_kind:     by_value
      - .offset:         56
        .size:           8
        .value_kind:     by_value
      - .offset:         64
        .size:           8
        .value_kind:     by_value
      - .address_space:  global
        .offset:         72
        .size:           8
        .value_kind:     global_buffer
      - .offset:         80
        .size:           4
        .value_kind:     by_value
      - .offset:         84
        .size:           4
        .value_kind:     by_value
      - .offset:         88
        .size:           4
        .value_kind:     by_value
      - .offset:         96
        .size:           4
        .value_kind:     hidden_block_count_x
      - .offset:         100
        .size:           4
        .value_kind:     hidden_block_count_y
      - .offset:         104
        .size:           4
        .value_kind:     hidden_block_count_z
      - .offset:         108
        .size:           2
        .value_kind:     hidden_group_size_x
      - .offset:         110
        .size:           2
        .value_kind:     hidden_group_size_y
      - .offset:         112
        .size:           2
        .value_kind:     hidden_group_size_z
      - .offset:         114
        .size:           2
        .value_kind:     hidden_remainder_x
      - .offset:         116
        .size:           2
        .value_kind:     hidden_remainder_y
      - .offset:         118
        .size:           2
        .value_kind:     hidden_remainder_z
      - .offset:         136
        .size:           8
        .value_kind:     hidden_global_offset_x
      - .offset:         144
        .size:           8
        .value_kind:     hidden_global_offset_y
      - .offset:         152
        .size:           8
        .value_kind:     hidden_global_offset_z
      - .offset:         160
        .size:           2
        .value_kind:     hidden_grid_dims
    .group_segment_fixed_size: 0
    .kernarg_segment_align: 8
    .kernarg_segment_size: 352
    .language:       OpenCL C
    .language_version:
      - 2
      - 0
    .max_flat_workgroup_size: 1024
    .name:           _ZN2at6native12_GLOBAL__N_137upsample_nearest3d_backward_out_frameIhlXadL_ZNS0_46nearest_neighbor_exact_bw_compute_source_indexEfiiEEEEvPKT_mmmmmmmmPS3_fff
    .private_segment_fixed_size: 0
    .sgpr_count:     41
    .sgpr_spill_count: 0
    .symbol:         _ZN2at6native12_GLOBAL__N_137upsample_nearest3d_backward_out_frameIhlXadL_ZNS0_46nearest_neighbor_exact_bw_compute_source_indexEfiiEEEEvPKT_mmmmmmmmPS3_fff.kd
    .uniform_work_group_size: 1
    .uses_dynamic_stack: false
    .vgpr_count:     24
    .vgpr_spill_count: 0
    .wavefront_size: 32
amdhsa.target:   amdgcn-amd-amdhsa--gfx1250
amdhsa.version:
  - 1
  - 2
...

	.end_amdgpu_metadata
